;; amdgpu-corpus repo=ROCm/rocFFT kind=compiled arch=gfx1030 opt=O3
	.text
	.amdgcn_target "amdgcn-amd-amdhsa--gfx1030"
	.amdhsa_code_object_version 6
	.protected	fft_rtc_fwd_len3000_factors_10_3_10_10_wgs_100_tpt_100_halfLds_sp_op_CI_CI_unitstride_sbrr_dirReg ; -- Begin function fft_rtc_fwd_len3000_factors_10_3_10_10_wgs_100_tpt_100_halfLds_sp_op_CI_CI_unitstride_sbrr_dirReg
	.globl	fft_rtc_fwd_len3000_factors_10_3_10_10_wgs_100_tpt_100_halfLds_sp_op_CI_CI_unitstride_sbrr_dirReg
	.p2align	8
	.type	fft_rtc_fwd_len3000_factors_10_3_10_10_wgs_100_tpt_100_halfLds_sp_op_CI_CI_unitstride_sbrr_dirReg,@function
fft_rtc_fwd_len3000_factors_10_3_10_10_wgs_100_tpt_100_halfLds_sp_op_CI_CI_unitstride_sbrr_dirReg: ; @fft_rtc_fwd_len3000_factors_10_3_10_10_wgs_100_tpt_100_halfLds_sp_op_CI_CI_unitstride_sbrr_dirReg
; %bb.0:
	s_clause 0x2
	s_load_dwordx4 s[12:15], s[4:5], 0x0
	s_load_dwordx4 s[8:11], s[4:5], 0x58
	;; [unrolled: 1-line block ×3, first 2 shown]
	v_mul_u32_u24_e32 v1, 0x290, v0
	v_mov_b32_e32 v5, 0
	v_mov_b32_e32 v63, 0
	;; [unrolled: 1-line block ×3, first 2 shown]
	v_add_nc_u32_sdwa v7, s6, v1 dst_sel:DWORD dst_unused:UNUSED_PAD src0_sel:DWORD src1_sel:WORD_1
	v_mov_b32_e32 v8, v5
	s_waitcnt lgkmcnt(0)
	v_cmp_lt_u64_e64 s0, s[14:15], 2
	s_and_b32 vcc_lo, exec_lo, s0
	s_cbranch_vccnz .LBB0_8
; %bb.1:
	s_load_dwordx2 s[0:1], s[4:5], 0x10
	v_mov_b32_e32 v63, 0
	v_mov_b32_e32 v64, 0
	s_add_u32 s2, s18, 8
	s_addc_u32 s3, s19, 0
	v_mov_b32_e32 v1, v63
	s_add_u32 s6, s16, 8
	v_mov_b32_e32 v2, v64
	s_addc_u32 s7, s17, 0
	s_mov_b64 s[22:23], 1
	s_waitcnt lgkmcnt(0)
	s_add_u32 s20, s0, 8
	s_addc_u32 s21, s1, 0
.LBB0_2:                                ; =>This Inner Loop Header: Depth=1
	s_load_dwordx2 s[24:25], s[20:21], 0x0
                                        ; implicit-def: $vgpr3_vgpr4
	s_mov_b32 s0, exec_lo
	s_waitcnt lgkmcnt(0)
	v_or_b32_e32 v6, s25, v8
	v_cmpx_ne_u64_e32 0, v[5:6]
	s_xor_b32 s1, exec_lo, s0
	s_cbranch_execz .LBB0_4
; %bb.3:                                ;   in Loop: Header=BB0_2 Depth=1
	v_cvt_f32_u32_e32 v3, s24
	v_cvt_f32_u32_e32 v4, s25
	s_sub_u32 s0, 0, s24
	s_subb_u32 s26, 0, s25
	v_fmac_f32_e32 v3, 0x4f800000, v4
	v_rcp_f32_e32 v3, v3
	v_mul_f32_e32 v3, 0x5f7ffffc, v3
	v_mul_f32_e32 v4, 0x2f800000, v3
	v_trunc_f32_e32 v4, v4
	v_fmac_f32_e32 v3, 0xcf800000, v4
	v_cvt_u32_f32_e32 v4, v4
	v_cvt_u32_f32_e32 v3, v3
	v_mul_lo_u32 v6, s0, v4
	v_mul_hi_u32 v9, s0, v3
	v_mul_lo_u32 v10, s26, v3
	v_add_nc_u32_e32 v6, v9, v6
	v_mul_lo_u32 v9, s0, v3
	v_add_nc_u32_e32 v6, v6, v10
	v_mul_hi_u32 v10, v3, v9
	v_mul_lo_u32 v11, v3, v6
	v_mul_hi_u32 v12, v3, v6
	v_mul_hi_u32 v13, v4, v9
	v_mul_lo_u32 v9, v4, v9
	v_mul_hi_u32 v14, v4, v6
	v_mul_lo_u32 v6, v4, v6
	v_add_co_u32 v10, vcc_lo, v10, v11
	v_add_co_ci_u32_e32 v11, vcc_lo, 0, v12, vcc_lo
	v_add_co_u32 v9, vcc_lo, v10, v9
	v_add_co_ci_u32_e32 v9, vcc_lo, v11, v13, vcc_lo
	v_add_co_ci_u32_e32 v10, vcc_lo, 0, v14, vcc_lo
	v_add_co_u32 v6, vcc_lo, v9, v6
	v_add_co_ci_u32_e32 v9, vcc_lo, 0, v10, vcc_lo
	v_add_co_u32 v3, vcc_lo, v3, v6
	v_add_co_ci_u32_e32 v4, vcc_lo, v4, v9, vcc_lo
	v_mul_hi_u32 v6, s0, v3
	v_mul_lo_u32 v10, s26, v3
	v_mul_lo_u32 v9, s0, v4
	v_add_nc_u32_e32 v6, v6, v9
	v_mul_lo_u32 v9, s0, v3
	v_add_nc_u32_e32 v6, v6, v10
	v_mul_hi_u32 v10, v3, v9
	v_mul_lo_u32 v11, v3, v6
	v_mul_hi_u32 v12, v3, v6
	v_mul_hi_u32 v13, v4, v9
	v_mul_lo_u32 v9, v4, v9
	v_mul_hi_u32 v14, v4, v6
	v_mul_lo_u32 v6, v4, v6
	v_add_co_u32 v10, vcc_lo, v10, v11
	v_add_co_ci_u32_e32 v11, vcc_lo, 0, v12, vcc_lo
	v_add_co_u32 v9, vcc_lo, v10, v9
	v_add_co_ci_u32_e32 v9, vcc_lo, v11, v13, vcc_lo
	v_add_co_ci_u32_e32 v10, vcc_lo, 0, v14, vcc_lo
	v_add_co_u32 v6, vcc_lo, v9, v6
	v_add_co_ci_u32_e32 v9, vcc_lo, 0, v10, vcc_lo
	v_add_co_u32 v6, vcc_lo, v3, v6
	v_add_co_ci_u32_e32 v11, vcc_lo, v4, v9, vcc_lo
	v_mul_hi_u32 v13, v7, v6
	v_mad_u64_u32 v[9:10], null, v8, v6, 0
	v_mad_u64_u32 v[3:4], null, v7, v11, 0
	;; [unrolled: 1-line block ×3, first 2 shown]
	v_add_co_u32 v3, vcc_lo, v13, v3
	v_add_co_ci_u32_e32 v4, vcc_lo, 0, v4, vcc_lo
	v_add_co_u32 v3, vcc_lo, v3, v9
	v_add_co_ci_u32_e32 v3, vcc_lo, v4, v10, vcc_lo
	v_add_co_ci_u32_e32 v4, vcc_lo, 0, v12, vcc_lo
	v_add_co_u32 v6, vcc_lo, v3, v11
	v_add_co_ci_u32_e32 v9, vcc_lo, 0, v4, vcc_lo
	v_mul_lo_u32 v10, s25, v6
	v_mad_u64_u32 v[3:4], null, s24, v6, 0
	v_mul_lo_u32 v11, s24, v9
	v_sub_co_u32 v3, vcc_lo, v7, v3
	v_add3_u32 v4, v4, v11, v10
	v_sub_nc_u32_e32 v10, v8, v4
	v_subrev_co_ci_u32_e64 v10, s0, s25, v10, vcc_lo
	v_add_co_u32 v11, s0, v6, 2
	v_add_co_ci_u32_e64 v12, s0, 0, v9, s0
	v_sub_co_u32 v13, s0, v3, s24
	v_sub_co_ci_u32_e32 v4, vcc_lo, v8, v4, vcc_lo
	v_subrev_co_ci_u32_e64 v10, s0, 0, v10, s0
	v_cmp_le_u32_e32 vcc_lo, s24, v13
	v_cmp_eq_u32_e64 s0, s25, v4
	v_cndmask_b32_e64 v13, 0, -1, vcc_lo
	v_cmp_le_u32_e32 vcc_lo, s25, v10
	v_cndmask_b32_e64 v14, 0, -1, vcc_lo
	v_cmp_le_u32_e32 vcc_lo, s24, v3
	;; [unrolled: 2-line block ×3, first 2 shown]
	v_cndmask_b32_e64 v15, 0, -1, vcc_lo
	v_cmp_eq_u32_e32 vcc_lo, s25, v10
	v_cndmask_b32_e64 v3, v15, v3, s0
	v_cndmask_b32_e32 v10, v14, v13, vcc_lo
	v_add_co_u32 v13, vcc_lo, v6, 1
	v_add_co_ci_u32_e32 v14, vcc_lo, 0, v9, vcc_lo
	v_cmp_ne_u32_e32 vcc_lo, 0, v10
	v_cndmask_b32_e32 v4, v14, v12, vcc_lo
	v_cndmask_b32_e32 v10, v13, v11, vcc_lo
	v_cmp_ne_u32_e32 vcc_lo, 0, v3
	v_cndmask_b32_e32 v4, v9, v4, vcc_lo
	v_cndmask_b32_e32 v3, v6, v10, vcc_lo
.LBB0_4:                                ;   in Loop: Header=BB0_2 Depth=1
	s_andn2_saveexec_b32 s0, s1
	s_cbranch_execz .LBB0_6
; %bb.5:                                ;   in Loop: Header=BB0_2 Depth=1
	v_cvt_f32_u32_e32 v3, s24
	s_sub_i32 s1, 0, s24
	v_rcp_iflag_f32_e32 v3, v3
	v_mul_f32_e32 v3, 0x4f7ffffe, v3
	v_cvt_u32_f32_e32 v3, v3
	v_mul_lo_u32 v4, s1, v3
	v_mul_hi_u32 v4, v3, v4
	v_add_nc_u32_e32 v3, v3, v4
	v_mul_hi_u32 v3, v7, v3
	v_mul_lo_u32 v4, v3, s24
	v_add_nc_u32_e32 v6, 1, v3
	v_sub_nc_u32_e32 v4, v7, v4
	v_subrev_nc_u32_e32 v9, s24, v4
	v_cmp_le_u32_e32 vcc_lo, s24, v4
	v_cndmask_b32_e32 v4, v4, v9, vcc_lo
	v_cndmask_b32_e32 v3, v3, v6, vcc_lo
	v_cmp_le_u32_e32 vcc_lo, s24, v4
	v_add_nc_u32_e32 v6, 1, v3
	v_mov_b32_e32 v4, v5
	v_cndmask_b32_e32 v3, v3, v6, vcc_lo
.LBB0_6:                                ;   in Loop: Header=BB0_2 Depth=1
	s_or_b32 exec_lo, exec_lo, s0
	v_mul_lo_u32 v6, v4, s24
	v_mul_lo_u32 v11, v3, s25
	s_load_dwordx2 s[0:1], s[6:7], 0x0
	v_mad_u64_u32 v[9:10], null, v3, s24, 0
	s_load_dwordx2 s[24:25], s[2:3], 0x0
	s_add_u32 s22, s22, 1
	s_addc_u32 s23, s23, 0
	s_add_u32 s2, s2, 8
	s_addc_u32 s3, s3, 0
	s_add_u32 s6, s6, 8
	v_add3_u32 v6, v10, v11, v6
	v_sub_co_u32 v7, vcc_lo, v7, v9
	s_addc_u32 s7, s7, 0
	s_add_u32 s20, s20, 8
	v_sub_co_ci_u32_e32 v6, vcc_lo, v8, v6, vcc_lo
	s_addc_u32 s21, s21, 0
	s_waitcnt lgkmcnt(0)
	v_mul_lo_u32 v8, s0, v6
	v_mul_lo_u32 v9, s1, v7
	v_mad_u64_u32 v[63:64], null, s0, v7, v[63:64]
	v_mul_lo_u32 v6, s24, v6
	v_mul_lo_u32 v10, s25, v7
	v_mad_u64_u32 v[1:2], null, s24, v7, v[1:2]
	v_cmp_ge_u64_e64 s0, s[22:23], s[14:15]
	v_add3_u32 v64, v9, v64, v8
	v_add3_u32 v2, v10, v2, v6
	s_and_b32 vcc_lo, exec_lo, s0
	s_cbranch_vccnz .LBB0_9
; %bb.7:                                ;   in Loop: Header=BB0_2 Depth=1
	v_mov_b32_e32 v8, v4
	v_mov_b32_e32 v7, v3
	s_branch .LBB0_2
.LBB0_8:
	v_mov_b32_e32 v1, v63
	v_mov_b32_e32 v3, v7
	;; [unrolled: 1-line block ×4, first 2 shown]
.LBB0_9:
	s_load_dwordx2 s[0:1], s[4:5], 0x28
	v_mul_hi_u32 v5, 0x28f5c29, v0
	s_lshl_b64 s[4:5], s[14:15], 3
                                        ; implicit-def: $vgpr73
	s_add_u32 s2, s18, s4
	s_addc_u32 s3, s19, s5
	s_waitcnt lgkmcnt(0)
	v_cmp_gt_u64_e32 vcc_lo, s[0:1], v[3:4]
	v_cmp_le_u64_e64 s0, s[0:1], v[3:4]
	s_and_saveexec_b32 s1, s0
	s_xor_b32 s0, exec_lo, s1
; %bb.10:
	v_mul_u32_u24_e32 v5, 0x64, v5
                                        ; implicit-def: $vgpr63_vgpr64
	v_sub_nc_u32_e32 v73, v0, v5
                                        ; implicit-def: $vgpr5
                                        ; implicit-def: $vgpr0
; %bb.11:
	s_or_saveexec_b32 s1, s0
                                        ; implicit-def: $vgpr22
                                        ; implicit-def: $vgpr18
                                        ; implicit-def: $vgpr24
                                        ; implicit-def: $vgpr16
                                        ; implicit-def: $vgpr36
                                        ; implicit-def: $vgpr14
                                        ; implicit-def: $vgpr60
                                        ; implicit-def: $vgpr12
                                        ; implicit-def: $vgpr8
                                        ; implicit-def: $vgpr6
                                        ; implicit-def: $vgpr40
                                        ; implicit-def: $vgpr38
                                        ; implicit-def: $vgpr32
                                        ; implicit-def: $vgpr26
                                        ; implicit-def: $vgpr42
                                        ; implicit-def: $vgpr28
                                        ; implicit-def: $vgpr62
                                        ; implicit-def: $vgpr34
                                        ; implicit-def: $vgpr20
                                        ; implicit-def: $vgpr10
                                        ; implicit-def: $vgpr52
                                        ; implicit-def: $vgpr56
                                        ; implicit-def: $vgpr58
                                        ; implicit-def: $vgpr46
                                        ; implicit-def: $vgpr54
                                        ; implicit-def: $vgpr44
                                        ; implicit-def: $vgpr65
                                        ; implicit-def: $vgpr50
                                        ; implicit-def: $vgpr48
                                        ; implicit-def: $vgpr30
	s_xor_b32 exec_lo, exec_lo, s1
	s_cbranch_execz .LBB0_13
; %bb.12:
	s_add_u32 s4, s16, s4
	s_addc_u32 s5, s17, s5
	s_load_dwordx2 s[4:5], s[4:5], 0x0
	s_waitcnt lgkmcnt(0)
	v_mul_lo_u32 v8, s5, v3
	v_mul_lo_u32 v9, s4, v4
	v_mad_u64_u32 v[6:7], null, s4, v3, 0
	v_add3_u32 v7, v7, v9, v8
	v_mul_u32_u24_e32 v9, 0x64, v5
	v_lshlrev_b64 v[5:6], 3, v[6:7]
	v_lshlrev_b64 v[7:8], 3, v[63:64]
	v_sub_nc_u32_e32 v73, v0, v9
	v_add_co_u32 v0, s0, s8, v5
	v_add_co_ci_u32_e64 v5, s0, s9, v6, s0
	v_lshlrev_b32_e32 v6, 3, v73
	v_add_co_u32 v0, s0, v0, v7
	v_add_co_ci_u32_e64 v5, s0, v5, v8, s0
	v_add_co_u32 v15, s0, v0, v6
	v_add_co_ci_u32_e64 v16, s0, 0, v5, s0
	;; [unrolled: 2-line block ×12, first 2 shown]
	s_clause 0x12
	global_load_dwordx2 v[29:30], v[15:16], off
	global_load_dwordx2 v[9:10], v[15:16], off offset:800
	global_load_dwordx2 v[19:20], v[7:8], off offset:1152
	;; [unrolled: 1-line block ×18, first 2 shown]
	v_add_co_u32 v21, s0, 0x5800, v15
	v_add_co_ci_u32_e64 v22, s0, 0, v16, s0
	s_clause 0xa
	global_load_dwordx2 v[57:58], v[35:36], off offset:416
	global_load_dwordx2 v[15:16], v[23:24], off offset:1664
	global_load_dwordx2 v[37:38], v[39:40], off offset:1568
	global_load_dwordx2 v[55:56], v[39:40], off offset:768
	global_load_dwordx2 v[23:24], v[35:36], off offset:2016
	global_load_dwordx2 v[41:42], v[68:69], off offset:512
	global_load_dwordx2 v[39:40], v[66:67], off offset:1920
	global_load_dwordx2 v[51:52], v[66:67], off offset:1120
	global_load_dwordx2 v[17:18], v[66:67], off offset:320
	global_load_dwordx2 v[35:36], v[68:69], off offset:1312
	global_load_dwordx2 v[21:22], v[21:22], off offset:672
.LBB0_13:
	s_or_b32 exec_lo, exec_lo, s1
	s_waitcnt vmcnt(24)
	v_add_f32_e32 v0, v45, v43
	s_waitcnt vmcnt(7)
	v_add_f32_e32 v63, v55, v49
	v_add_f32_e32 v76, v49, v29
	v_sub_f32_e32 v66, v45, v55
	v_sub_f32_e32 v67, v49, v43
	v_fma_f32 v0, -0.5, v0, v29
	v_fmac_f32_e32 v29, -0.5, v63
	v_sub_f32_e32 v63, v43, v49
	v_sub_f32_e32 v71, v55, v45
	;; [unrolled: 1-line block ×3, first 2 shown]
	s_waitcnt vmcnt(3)
	v_add_f32_e32 v80, v52, v65
	v_sub_f32_e32 v70, v50, v56
	v_add_f32_e32 v63, v66, v63
	v_add_f32_e32 v66, v57, v53
	;; [unrolled: 1-line block ×3, first 2 shown]
	v_sub_f32_e32 v67, v51, v57
	v_fmamk_f32 v68, v69, 0xbf737871, v29
	v_fmac_f32_e32 v29, 0x3f737871, v69
	v_fma_f32 v86, -0.5, v66, v47
	v_sub_f32_e32 v66, v64, v53
	v_add_f32_e32 v74, v51, v64
	v_sub_f32_e32 v78, v53, v64
	v_sub_f32_e32 v79, v57, v51
	v_add_f32_e32 v77, v64, v47
	v_add_f32_e32 v75, v67, v66
	;; [unrolled: 1-line block ×4, first 2 shown]
	v_fmac_f32_e32 v68, 0x3f167918, v70
	v_fmac_f32_e32 v29, 0xbf167918, v70
	v_sub_f32_e32 v72, v54, v58
	v_fma_f32 v87, -0.5, v66, v48
	v_fmac_f32_e32 v48, -0.5, v80
	v_sub_f32_e32 v80, v53, v57
	v_fmac_f32_e32 v47, -0.5, v74
	v_sub_f32_e32 v74, v65, v52
	v_add_f32_e32 v78, v79, v78
	v_sub_f32_e32 v66, v65, v54
	v_sub_f32_e32 v79, v64, v51
	;; [unrolled: 1-line block ×4, first 2 shown]
	v_fmamk_f32 v64, v80, 0x3f737871, v48
	v_fmac_f32_e32 v48, 0xbf737871, v80
	v_sub_f32_e32 v82, v52, v58
	v_fmac_f32_e32 v68, 0x3e9e377a, v63
	v_fmac_f32_e32 v29, 0x3e9e377a, v63
	v_fmamk_f32 v63, v72, 0xbf737871, v47
	v_fmac_f32_e32 v47, 0x3f737871, v72
	v_add_f32_e32 v65, v81, v65
	v_fmac_f32_e32 v64, 0xbf167918, v79
	v_fmac_f32_e32 v48, 0x3f167918, v79
	v_add_f32_e32 v81, v82, v66
	v_fmamk_f32 v66, v74, 0x3f737871, v86
	v_fmac_f32_e32 v63, 0x3f167918, v74
	v_fmac_f32_e32 v47, 0xbf167918, v74
	;; [unrolled: 1-line block ×4, first 2 shown]
	v_add_f32_e32 v76, v43, v76
	v_fmamk_f32 v65, v79, 0xbf737871, v87
	v_fmac_f32_e32 v66, 0x3f167918, v72
	v_fmac_f32_e32 v63, 0x3e9e377a, v78
	;; [unrolled: 1-line block ×3, first 2 shown]
	v_fmamk_f32 v82, v70, 0x3f737871, v0
	v_add_f32_e32 v53, v53, v77
	v_add_f32_e32 v76, v45, v76
	v_fmac_f32_e32 v65, 0xbf167918, v80
	v_fmac_f32_e32 v66, 0x3e9e377a, v75
	;; [unrolled: 1-line block ×3, first 2 shown]
	v_add_f32_e32 v53, v57, v53
	v_add_f32_e32 v57, v55, v76
	v_fmac_f32_e32 v65, 0x3e9e377a, v81
	v_mul_f32_e32 v83, 0x3f4f1bbd, v66
	v_mul_f32_e32 v84, 0x3e9e377a, v63
	;; [unrolled: 1-line block ×3, first 2 shown]
	v_fmac_f32_e32 v86, 0xbf737871, v74
	v_fmac_f32_e32 v0, 0xbf737871, v70
	;; [unrolled: 1-line block ×3, first 2 shown]
	v_add_f32_e32 v53, v51, v53
	v_fmac_f32_e32 v83, 0x3f167918, v65
	v_fmac_f32_e32 v84, 0x3f737871, v64
	v_fma_f32 v51, 0x3f737871, v48, -v76
	v_fmac_f32_e32 v86, 0xbf167918, v72
	v_mul_u32_u24_e32 v72, 10, v73
	v_fmac_f32_e32 v0, 0xbf167918, v69
	v_add_f32_e32 v76, v53, v57
	v_add_f32_e32 v77, v82, v83
	;; [unrolled: 1-line block ×3, first 2 shown]
	v_fmac_f32_e32 v87, 0x3f737871, v79
	v_add_f32_e32 v79, v29, v51
	v_lshl_add_u32 v88, v72, 2, 0
	v_fmac_f32_e32 v0, 0x3e9e377a, v71
	v_add_f32_e32 v71, v25, v27
	v_add_f32_e32 v72, v37, v33
	v_sub_f32_e32 v70, v57, v53
	ds_write2_b64 v88, v[76:77], v[78:79] offset1:1
	v_add_f32_e32 v53, v33, v9
	v_fma_f32 v57, -0.5, v71, v9
	v_fmac_f32_e32 v9, -0.5, v72
	v_sub_f32_e32 v76, v28, v26
	v_fmac_f32_e32 v87, 0x3f167918, v80
	v_sub_f32_e32 v72, v27, v33
	v_sub_f32_e32 v74, v25, v37
	;; [unrolled: 1-line block ×3, first 2 shown]
	v_fmamk_f32 v77, v76, 0xbf737871, v9
	v_fmac_f32_e32 v9, 0x3f737871, v76
	v_fmac_f32_e32 v86, 0x3e9e377a, v75
	v_fmac_f32_e32 v87, 0x3e9e377a, v81
	v_sub_f32_e32 v71, v82, v83
	v_sub_f32_e32 v75, v33, v27
	;; [unrolled: 1-line block ×3, first 2 shown]
	v_add_f32_e32 v74, v74, v72
	v_fmac_f32_e32 v77, 0x3f167918, v79
	v_fmac_f32_e32 v9, 0xbf167918, v79
	v_sub_f32_e32 v81, v61, v41
	v_sub_f32_e32 v82, v39, v31
	;; [unrolled: 1-line block ×3, first 2 shown]
	v_add_f32_e32 v68, v80, v75
	v_add_f32_e32 v75, v31, v41
	v_fmac_f32_e32 v77, 0x3e9e377a, v74
	v_add_f32_e32 v80, v39, v61
	v_fmac_f32_e32 v9, 0x3e9e377a, v74
	v_add_f32_e32 v81, v82, v81
	v_sub_f32_e32 v74, v41, v61
	v_sub_f32_e32 v82, v31, v39
	v_fma_f32 v90, -0.5, v75, v19
	v_add_f32_e32 v75, v61, v19
	v_fmac_f32_e32 v19, -0.5, v80
	v_sub_f32_e32 v80, v42, v32
	v_sub_f32_e32 v83, v62, v40
	v_add_f32_e32 v84, v32, v42
	v_add_f32_e32 v74, v82, v74
	;; [unrolled: 1-line block ×3, first 2 shown]
	v_fmamk_f32 v97, v80, 0xbf737871, v19
	v_fmac_f32_e32 v19, 0x3f737871, v80
	v_fma_f32 v98, -0.5, v84, v20
	v_add_f32_e32 v99, v62, v20
	v_fmac_f32_e32 v20, -0.5, v82
	v_sub_f32_e32 v82, v41, v31
	v_sub_f32_e32 v84, v61, v39
	v_fmamk_f32 v101, v83, 0x3f737871, v90
	v_mul_f32_e32 v69, 0x3f4f1bbd, v86
	v_fmac_f32_e32 v97, 0x3f167918, v83
	v_fmac_f32_e32 v19, 0xbf167918, v83
	v_sub_f32_e32 v61, v42, v62
	v_sub_f32_e32 v85, v32, v40
	v_fmamk_f32 v100, v82, 0x3f737871, v20
	v_fmac_f32_e32 v20, 0xbf737871, v82
	v_sub_f32_e32 v62, v62, v42
	v_sub_f32_e32 v89, v40, v32
	v_add_f32_e32 v53, v27, v53
	v_fmamk_f32 v102, v84, 0xbf737871, v98
	v_fmac_f32_e32 v101, 0x3f167918, v80
	v_fma_f32 v78, 0x3f167918, v87, -v69
	v_fmac_f32_e32 v97, 0x3e9e377a, v74
	v_add_f32_e32 v61, v85, v61
	v_fmac_f32_e32 v100, 0xbf167918, v84
	v_fmac_f32_e32 v20, 0x3f167918, v84
	;; [unrolled: 1-line block ×3, first 2 shown]
	v_add_f32_e32 v85, v89, v62
	v_fmamk_f32 v89, v79, 0x3f737871, v57
	v_add_f32_e32 v41, v41, v75
	v_add_f32_e32 v53, v25, v53
	v_fmac_f32_e32 v102, 0xbf167918, v82
	v_fmac_f32_e32 v101, 0x3e9e377a, v81
	v_add_f32_e32 v69, v0, v78
	v_fmac_f32_e32 v100, 0x3e9e377a, v61
	v_fmac_f32_e32 v20, 0x3e9e377a, v61
	;; [unrolled: 1-line block ×3, first 2 shown]
	v_add_f32_e32 v31, v31, v41
	v_add_f32_e32 v41, v37, v53
	v_fmac_f32_e32 v102, 0x3e9e377a, v85
	v_mul_f32_e32 v53, 0x3f4f1bbd, v101
	v_mul_f32_e32 v91, 0x3e9e377a, v97
	;; [unrolled: 1-line block ×3, first 2 shown]
	v_add_f32_e32 v39, v39, v31
	v_fmac_f32_e32 v89, 0x3e9e377a, v68
	v_fmac_f32_e32 v53, 0x3f167918, v102
	;; [unrolled: 1-line block ×3, first 2 shown]
	v_fma_f32 v92, 0x3f737871, v20, -v61
	ds_write2_b64 v88, v[69:70], v[71:72] offset0:2 offset1:3
	v_add_f32_e32 v69, v15, v13
	s_waitcnt vmcnt(2)
	v_add_f32_e32 v70, v17, v11
	v_add_f32_e32 v61, v39, v41
	;; [unrolled: 1-line block ×5, first 2 shown]
	v_add_nc_u32_e32 v31, 0xfa0, v88
	v_fma_f32 v72, -0.5, v69, v5
	v_add_f32_e32 v71, v11, v5
	v_fmac_f32_e32 v5, -0.5, v70
	v_sub_f32_e32 v70, v14, v16
	v_fmac_f32_e32 v90, 0xbf737871, v83
	v_fmac_f32_e32 v57, 0xbf737871, v79
	ds_write2_b64 v31, v[61:62], v[74:75] offset1:1
	v_sub_f32_e32 v69, v41, v39
	v_sub_f32_e32 v39, v13, v11
	;; [unrolled: 1-line block ×3, first 2 shown]
	v_fmamk_f32 v75, v70, 0xbf737871, v5
	v_sub_f32_e32 v74, v12, v18
	v_fmac_f32_e32 v5, 0x3f737871, v70
	v_fmac_f32_e32 v90, 0xbf167918, v80
	;; [unrolled: 1-line block ×3, first 2 shown]
	v_sub_f32_e32 v62, v77, v91
	v_sub_f32_e32 v76, v11, v13
	;; [unrolled: 1-line block ×3, first 2 shown]
	v_add_f32_e32 v39, v41, v39
	v_fmac_f32_e32 v75, 0x3f167918, v74
	v_fmac_f32_e32 v5, 0xbf167918, v74
	s_waitcnt vmcnt(1)
	v_sub_f32_e32 v79, v59, v35
	s_waitcnt vmcnt(0)
	v_sub_f32_e32 v80, v21, v23
	v_fmac_f32_e32 v98, 0x3f737871, v84
	v_add_f32_e32 v41, v77, v76
	v_add_f32_e32 v76, v23, v35
	v_fmac_f32_e32 v75, 0x3e9e377a, v39
	v_add_f32_e32 v77, v21, v59
	v_fmac_f32_e32 v5, 0x3e9e377a, v39
	v_add_f32_e32 v39, v80, v79
	v_sub_f32_e32 v79, v35, v59
	v_sub_f32_e32 v80, v23, v21
	v_fmac_f32_e32 v98, 0x3f167918, v82
	v_fma_f32 v103, -0.5, v76, v7
	v_add_f32_e32 v76, v59, v7
	v_fmac_f32_e32 v7, -0.5, v77
	v_sub_f32_e32 v77, v36, v24
	v_add_f32_e32 v82, v24, v36
	v_add_f32_e32 v79, v80, v79
	;; [unrolled: 1-line block ×3, first 2 shown]
	v_fmac_f32_e32 v90, 0x3e9e377a, v81
	v_fmamk_f32 v104, v77, 0xbf737871, v7
	v_sub_f32_e32 v81, v60, v22
	v_fma_f32 v105, -0.5, v82, v8
	v_add_f32_e32 v106, v60, v8
	v_fmac_f32_e32 v8, -0.5, v80
	v_sub_f32_e32 v80, v35, v23
	v_fmac_f32_e32 v7, 0x3f737871, v77
	v_fmac_f32_e32 v104, 0x3f167918, v81
	v_sub_f32_e32 v59, v59, v21
	v_sub_f32_e32 v82, v36, v60
	;; [unrolled: 1-line block ×3, first 2 shown]
	v_fmamk_f32 v107, v80, 0x3f737871, v8
	v_add_f32_e32 v35, v35, v76
	v_fmac_f32_e32 v7, 0xbf167918, v81
	v_fmac_f32_e32 v104, 0x3e9e377a, v79
	;; [unrolled: 1-line block ×3, first 2 shown]
	v_add_f32_e32 v82, v83, v82
	v_fmac_f32_e32 v107, 0xbf167918, v59
	v_add_f32_e32 v71, v13, v71
	v_add_f32_e32 v23, v23, v35
	v_fmamk_f32 v108, v81, 0x3f737871, v103
	v_fmac_f32_e32 v103, 0xbf737871, v81
	v_fmac_f32_e32 v8, 0x3f167918, v59
	;; [unrolled: 1-line block ×4, first 2 shown]
	v_add_f32_e32 v71, v15, v71
	v_add_f32_e32 v21, v21, v23
	v_mul_f32_e32 v23, 0x3e9e377a, v104
	v_sub_f32_e32 v60, v60, v36
	v_sub_f32_e32 v84, v22, v24
	v_fmamk_f32 v109, v59, 0xbf737871, v105
	v_fmac_f32_e32 v108, 0x3f167918, v77
	v_fmac_f32_e32 v105, 0x3f737871, v59
	v_fmac_f32_e32 v103, 0xbf167918, v77
	v_fmac_f32_e32 v8, 0x3e9e377a, v82
	v_fmamk_f32 v79, v74, 0x3f737871, v72
	v_add_f32_e32 v35, v17, v71
	v_mul_f32_e32 v59, 0x3e9e377a, v7
	v_fmac_f32_e32 v23, 0x3f737871, v107
	v_fmac_f32_e32 v72, 0xbf737871, v74
	v_add_f32_e32 v60, v84, v60
	v_fmac_f32_e32 v109, 0xbf167918, v80
	v_fmac_f32_e32 v108, 0x3e9e377a, v39
	;; [unrolled: 1-line block ×4, first 2 shown]
	v_sub_f32_e32 v61, v89, v53
	v_fmac_f32_e32 v98, 0x3e9e377a, v85
	v_mul_f32_e32 v53, 0x3f4f1bbd, v90
	v_fmac_f32_e32 v79, 0x3f167918, v70
	v_fma_f32 v39, 0x3f737871, v8, -v59
	v_add_f32_e32 v59, v21, v35
	v_fmac_f32_e32 v72, 0xbf167918, v70
	v_add_f32_e32 v70, v75, v23
	v_sub_f32_e32 v75, v75, v23
	v_sub_f32_e32 v77, v35, v21
	v_add_f32_e32 v21, v54, v67
	v_add_f32_e32 v23, v50, v30
	;; [unrolled: 1-line block ×3, first 2 shown]
	v_sub_f32_e32 v95, v43, v45
	v_add_f32_e32 v43, v56, v50
	v_fmac_f32_e32 v109, 0x3e9e377a, v60
	v_mul_f32_e32 v76, 0x3f4f1bbd, v108
	v_fmac_f32_e32 v105, 0x3e9e377a, v60
	v_mul_f32_e32 v74, 0x3f4f1bbd, v103
	v_fmac_f32_e32 v57, 0x3e9e377a, v68
	v_fma_f32 v53, 0x3f167918, v98, -v53
	v_add_f32_e32 v23, v44, v23
	v_sub_f32_e32 v55, v49, v55
	v_fma_f32 v111, -0.5, v54, v30
	v_fmac_f32_e32 v30, -0.5, v43
	v_fmac_f32_e32 v79, 0x3e9e377a, v41
	v_fmac_f32_e32 v76, 0x3f167918, v109
	;; [unrolled: 1-line block ×3, first 2 shown]
	v_fma_f32 v41, 0x3f167918, v105, -v74
	v_add_f32_e32 v68, v57, v53
	v_add_nc_u32_e32 v89, 0xfb0, v88
	v_add_f32_e32 v21, v58, v21
	v_sub_f32_e32 v45, v50, v44
	v_sub_f32_e32 v58, v44, v50
	v_add_f32_e32 v23, v46, v23
	v_sub_f32_e32 v49, v56, v46
	v_sub_f32_e32 v46, v46, v56
	;; [unrolled: 1-line block ×4, first 2 shown]
	v_fmamk_f32 v29, v95, 0x3f737871, v30
	v_fmamk_f32 v114, v55, 0xbf737871, v111
	v_add_f32_e32 v60, v79, v76
	v_add_f32_e32 v71, v5, v39
	v_add_nc_u32_e32 v110, 0x1f40, v88
	v_sub_f32_e32 v74, v79, v76
	v_add_f32_e32 v76, v72, v41
	v_add_nc_u32_e32 v35, 0x1f50, v88
	ds_write2_b64 v89, v[68:69], v[61:62] offset1:1
	ds_write2_b64 v110, v[59:60], v[70:71] offset1:1
	;; [unrolled: 1-line block ×3, first 2 shown]
	v_fmac_f32_e32 v30, 0xbf737871, v95
	ds_write_b64 v88, v[43:44] offset:32
	v_add_f32_e32 v0, v46, v58
	v_fmac_f32_e32 v29, 0xbf167918, v55
	v_mul_f32_e32 v96, 0xbf167918, v66
	v_add_f32_e32 v113, v49, v45
	v_fmac_f32_e32 v114, 0xbf167918, v95
	v_sub_f32_e32 v43, v9, v92
	v_mul_f32_e32 v9, 0xbf737871, v63
	v_fmac_f32_e32 v111, 0x3f737871, v55
	v_add_f32_e32 v23, v56, v23
	v_mul_f32_e32 v48, 0x3e9e377a, v48
	v_add_f32_e32 v21, v52, v21
	v_fmac_f32_e32 v30, 0x3f167918, v55
	v_fmac_f32_e32 v29, 0x3e9e377a, v0
	;; [unrolled: 1-line block ×3, first 2 shown]
	v_sub_f32_e32 v45, v5, v39
	v_fmac_f32_e32 v114, 0x3e9e377a, v113
	v_fmac_f32_e32 v9, 0x3e9e377a, v64
	;; [unrolled: 1-line block ×3, first 2 shown]
	v_mul_f32_e32 v5, 0x3f4f1bbd, v87
	v_fma_f32 v112, 0xbf737871, v47, -v48
	v_fmac_f32_e32 v30, 0x3e9e377a, v0
	v_add_f32_e32 v91, v21, v23
	v_add_f32_e32 v92, v114, v96
	;; [unrolled: 1-line block ×3, first 2 shown]
	v_fmac_f32_e32 v111, 0x3e9e377a, v113
	v_fma_f32 v5, 0xbf167918, v86, -v5
	v_sub_f32_e32 v86, v114, v96
	v_sub_f32_e32 v87, v29, v9
	;; [unrolled: 1-line block ×3, first 2 shown]
	v_add_f32_e32 v9, v42, v99
	v_add_f32_e32 v21, v34, v10
	;; [unrolled: 1-line block ×4, first 2 shown]
	v_sub_f32_e32 v29, v30, v112
	v_sub_f32_e32 v30, v111, v5
	v_add_f32_e32 v5, v32, v9
	v_add_f32_e32 v9, v28, v21
	v_add_f32_e32 v21, v26, v28
	v_add_f32_e32 v32, v38, v34
	v_sub_f32_e32 v23, v27, v25
	v_sub_f32_e32 v25, v34, v28
	v_sub_f32_e32 v27, v28, v34
	v_sub_f32_e32 v28, v33, v37
	v_add_f32_e32 v9, v26, v9
	v_sub_f32_e32 v33, v38, v26
	v_mul_f32_e32 v20, 0x3e9e377a, v20
	v_fma_f32 v21, -0.5, v21, v10
	v_fmac_f32_e32 v10, -0.5, v32
	v_sub_f32_e32 v26, v26, v38
	v_add_f32_e32 v34, v38, v9
	v_fma_f32 v9, 0xbf737871, v19, -v20
	v_fmamk_f32 v32, v28, 0xbf737871, v21
	v_fmac_f32_e32 v21, 0x3f737871, v28
	v_add_f32_e32 v19, v33, v25
	v_fmamk_f32 v25, v23, 0x3f737871, v10
	v_fmac_f32_e32 v10, 0xbf737871, v23
	v_fmac_f32_e32 v32, 0xbf167918, v23
	;; [unrolled: 1-line block ×3, first 2 shown]
	v_add_f32_e32 v20, v26, v27
	v_fmac_f32_e32 v25, 0xbf167918, v28
	v_mul_f32_e32 v23, 0xbf737871, v97
	v_fmac_f32_e32 v10, 0x3f167918, v28
	v_fmac_f32_e32 v32, 0x3e9e377a, v19
	;; [unrolled: 1-line block ×3, first 2 shown]
	v_mul_f32_e32 v27, 0xbf167918, v101
	v_mul_f32_e32 v19, 0x3f4f1bbd, v98
	v_fmac_f32_e32 v25, 0x3e9e377a, v20
	v_fmac_f32_e32 v23, 0x3e9e377a, v100
	;; [unrolled: 1-line block ×4, first 2 shown]
	v_fma_f32 v37, 0xbf167918, v90, -v19
	v_add_f32_e32 v5, v40, v5
	v_add_f32_e32 v19, v25, v23
	v_sub_f32_e32 v26, v25, v23
	v_add_f32_e32 v23, v12, v6
	v_add_f32_e32 v36, v36, v106
	;; [unrolled: 1-line block ×3, first 2 shown]
	v_sub_f32_e32 v9, v10, v9
	v_sub_f32_e32 v25, v32, v27
	v_add_f32_e32 v28, v32, v27
	v_add_f32_e32 v32, v21, v37
	v_sub_f32_e32 v10, v21, v37
	v_add_f32_e32 v21, v14, v23
	v_add_f32_e32 v23, v16, v14
	;; [unrolled: 1-line block ×3, first 2 shown]
	v_sub_f32_e32 v33, v34, v5
	v_add_f32_e32 v5, v24, v36
	v_sub_f32_e32 v13, v13, v15
	v_sub_f32_e32 v15, v12, v14
	;; [unrolled: 1-line block ×4, first 2 shown]
	v_add_f32_e32 v12, v18, v12
	v_fma_f32 v24, -0.5, v23, v6
	v_add_f32_e32 v17, v16, v21
	v_sub_f32_e32 v21, v18, v16
	v_add_f32_e32 v22, v22, v5
	v_mul_f32_e32 v8, 0x3e9e377a, v8
	v_fmamk_f32 v5, v11, 0xbf737871, v24
	v_fmac_f32_e32 v24, 0x3f737871, v11
	v_fmac_f32_e32 v6, -0.5, v12
	v_sub_f32_e32 v16, v16, v18
	v_add_f32_e32 v12, v21, v15
	v_fmac_f32_e32 v5, 0xbf167918, v13
	v_fmac_f32_e32 v24, 0x3f167918, v13
	v_fma_f32 v7, 0xbf737871, v7, -v8
	v_fmamk_f32 v8, v13, 0x3f737871, v6
	v_fmac_f32_e32 v6, 0xbf737871, v13
	v_fmac_f32_e32 v5, 0x3e9e377a, v12
	;; [unrolled: 1-line block ×3, first 2 shown]
	v_add_f32_e32 v12, v16, v14
	v_mul_f32_e32 v13, 0xbf167918, v108
	v_mul_f32_e32 v15, 0xbf737871, v104
	v_fmac_f32_e32 v8, 0xbf167918, v11
	v_fmac_f32_e32 v6, 0x3f167918, v11
	v_and_b32_e32 v21, 0xff, v73
	v_fmac_f32_e32 v13, 0x3f4f1bbd, v109
	v_fmac_f32_e32 v15, 0x3e9e377a, v107
	;; [unrolled: 1-line block ×3, first 2 shown]
	v_mad_i32_i24 v0, 0xffffffdc, v73, v88
	v_fmac_f32_e32 v6, 0x3e9e377a, v12
	v_add_f32_e32 v12, v5, v13
	v_sub_f32_e32 v13, v5, v13
	v_sub_f32_e32 v14, v8, v15
	v_add_f32_e32 v15, v8, v15
	v_mul_lo_u16 v8, 0xcd, v21
	v_add_nc_u16 v5, v73, 0x64
	v_sub_f32_e32 v44, v57, v53
	v_sub_f32_e32 v46, v72, v41
	v_add_nc_u32_e32 v78, 0x800, v0
	v_add_nc_u32_e32 v77, 0x1c00, v0
	v_add_f32_e32 v18, v18, v17
	v_mul_f32_e32 v11, 0x3f4f1bbd, v105
	v_add_f32_e32 v16, v6, v7
	v_sub_f32_e32 v17, v6, v7
	v_lshrrev_b16 v8, 11, v8
	v_and_b32_e32 v6, 0xff, v5
	v_add_nc_u32_e32 v41, 0xe00, v0
	v_add_nc_u32_e32 v79, 0x1800, v0
	;; [unrolled: 1-line block ×8, first 2 shown]
	s_load_dwordx2 s[0:1], s[2:3], 0x0
	ds_write_b64 v88, v[43:44] offset:4032
	ds_write_b64 v88, v[45:46] offset:8032
	s_waitcnt lgkmcnt(0)
	s_barrier
	buffer_gl0_inv
	v_add_nc_u32_e32 v74, 0x2000, v0
	v_add_nc_u32_e32 v76, 0x400, v0
	;; [unrolled: 1-line block ×4, first 2 shown]
	ds_read2_b32 v[51:52], v0 offset1:100
	ds_read2_b32 v[71:72], v41 offset0:104 offset1:204
	ds_read2_b32 v[69:70], v81 offset0:80 offset1:180
	;; [unrolled: 1-line block ×14, first 2 shown]
	s_waitcnt lgkmcnt(0)
	s_barrier
	buffer_gl0_inv
	ds_write2_b64 v88, v[91:92], v[93:94] offset1:1
	ds_write2_b64 v88, v[95:96], v[86:87] offset0:2 offset1:3
	v_fma_f32 v34, 0xbf167918, v103, -v11
	ds_write_b64 v88, v[29:30] offset:32
	v_mul_lo_u16 v7, v8, 10
	ds_write2_b64 v31, v[27:28], v[19:20] offset1:1
	ds_write2_b64 v89, v[32:33], v[25:26] offset1:1
	v_mul_lo_u16 v19, 0xcd, v6
	v_add_f32_e32 v11, v22, v18
	v_sub_f32_e32 v23, v18, v22
	v_add_f32_e32 v22, v24, v34
	v_sub_f32_e32 v18, v24, v34
	ds_write_b64 v88, v[9:10] offset:4032
	v_sub_nc_u16 v9, v73, v7
	v_lshrrev_b16 v7, 11, v19
	v_add_nc_u32_e32 v37, 0xc8, v73
	v_mov_b32_e32 v34, 0xcccd
	v_mov_b32_e32 v20, 4
	ds_write2_b64 v110, v[11:12], v[15:16] offset1:1
	ds_write2_b64 v35, v[22:23], v[13:14] offset1:1
	ds_write_b64 v88, v[17:18] offset:8032
	v_mul_lo_u16 v10, v7, 10
	v_mul_u32_u24_sdwa v13, v37, v34 dst_sel:DWORD dst_unused:UNUSED_PAD src0_sel:WORD_0 src1_sel:DWORD
	v_add_nc_u32_e32 v22, 0x12c, v73
	v_lshlrev_b32_sdwa v12, v20, v9 dst_sel:DWORD dst_unused:UNUSED_PAD src0_sel:DWORD src1_sel:BYTE_0
	s_waitcnt lgkmcnt(0)
	v_sub_nc_u16 v11, v5, v10
	v_lshrrev_b32_e32 v10, 19, v13
	v_mul_u32_u24_sdwa v16, v22, v34 dst_sel:DWORD dst_unused:UNUSED_PAD src0_sel:WORD_0 src1_sel:DWORD
	s_barrier
	buffer_gl0_inv
	global_load_dwordx4 v[12:15], v12, s[12:13]
	v_lshlrev_b32_sdwa v17, v20, v11 dst_sel:DWORD dst_unused:UNUSED_PAD src0_sel:DWORD src1_sel:BYTE_0
	v_mul_lo_u16 v23, v10, 10
	v_add_nc_u32_e32 v26, 0x190, v73
	v_lshrrev_b32_e32 v112, 19, v16
	v_add_nc_u32_e32 v30, 0x1f4, v73
	global_load_dwordx4 v[16:19], v17, s[12:13]
	v_sub_nc_u16 v113, v37, v23
	v_mul_u32_u24_sdwa v23, v26, v34 dst_sel:DWORD dst_unused:UNUSED_PAD src0_sel:WORD_0 src1_sel:DWORD
	v_mul_lo_u16 v24, v112, 10
	v_mul_u32_u24_sdwa v27, v30, v34 dst_sel:DWORD dst_unused:UNUSED_PAD src0_sel:WORD_0 src1_sel:DWORD
	v_add_nc_u32_e32 v35, 0x258, v73
	v_lshlrev_b32_sdwa v25, v20, v113 dst_sel:DWORD dst_unused:UNUSED_PAD src0_sel:DWORD src1_sel:WORD_0
	v_lshrrev_b32_e32 v114, 19, v23
	v_sub_nc_u16 v115, v22, v24
	v_lshrrev_b32_e32 v116, 19, v27
	v_mul_u32_u24_sdwa v32, v35, v34 dst_sel:DWORD dst_unused:UNUSED_PAD src0_sel:WORD_0 src1_sel:DWORD
	global_load_dwordx4 v[22:25], v25, s[12:13]
	v_mul_lo_u16 v28, v114, 10
	v_lshlrev_b32_sdwa v29, v20, v115 dst_sel:DWORD dst_unused:UNUSED_PAD src0_sel:DWORD src1_sel:WORD_0
	v_mul_lo_u16 v31, v116, 10
	v_add_nc_u32_e32 v36, 0x2bc, v73
	v_lshrrev_b32_e32 v119, 19, v32
	v_sub_nc_u16 v117, v26, v28
	global_load_dwordx4 v[26:29], v29, s[12:13]
	v_sub_nc_u16 v118, v30, v31
	v_mul_u32_u24_sdwa v38, v36, v34 dst_sel:DWORD dst_unused:UNUSED_PAD src0_sel:WORD_0 src1_sel:DWORD
	v_mul_lo_u16 v42, v119, 10
	v_add_nc_u32_e32 v94, 0x320, v73
	v_lshlrev_b32_sdwa v33, v20, v117 dst_sel:DWORD dst_unused:UNUSED_PAD src0_sel:DWORD src1_sel:WORD_0
	v_lshlrev_b32_sdwa v40, v20, v118 dst_sel:DWORD dst_unused:UNUSED_PAD src0_sel:DWORD src1_sel:WORD_0
	v_lshrrev_b32_e32 v120, 19, v38
	v_sub_nc_u16 v121, v35, v42
	v_mul_u32_u24_sdwa v35, v94, v34 dst_sel:DWORD dst_unused:UNUSED_PAD src0_sel:WORD_0 src1_sel:DWORD
	s_clause 0x1
	global_load_dwordx4 v[30:33], v33, s[12:13]
	global_load_dwordx4 v[86:89], v40, s[12:13]
	v_mul_lo_u16 v38, v120, 10
	v_add_nc_u32_e32 v40, 0x384, v73
	v_lshrrev_b32_e32 v122, 19, v35
	v_lshlrev_b32_sdwa v42, v20, v121 dst_sel:DWORD dst_unused:UNUSED_PAD src0_sel:DWORD src1_sel:WORD_0
	v_mul_u32_u24_e32 v10, 0x78, v10
	v_sub_nc_u16 v123, v36, v38
	v_mul_u32_u24_sdwa v34, v40, v34 dst_sel:DWORD dst_unused:UNUSED_PAD src0_sel:WORD_0 src1_sel:DWORD
	v_mul_lo_u16 v35, v122, 10
	global_load_dwordx4 v[90:93], v42, s[12:13]
	v_mul_lo_u16 v21, 0x89, v21
	v_mul_lo_u16 v6, 0x89, v6
	v_lshrrev_b32_e32 v124, 19, v34
	v_lshlrev_b32_sdwa v34, v20, v123 dst_sel:DWORD dst_unused:UNUSED_PAD src0_sel:DWORD src1_sel:WORD_0
	v_sub_nc_u16 v125, v94, v35
	v_mul_lo_u16 v35, v124, 10
	global_load_dwordx4 v[94:97], v34, s[12:13]
	v_lshlrev_b32_sdwa v34, v20, v125 dst_sel:DWORD dst_unused:UNUSED_PAD src0_sel:DWORD src1_sel:WORD_0
	v_sub_nc_u16 v126, v40, v35
	global_load_dwordx4 v[98:101], v34, s[12:13]
	v_lshlrev_b32_sdwa v20, v20, v126 dst_sel:DWORD dst_unused:UNUSED_PAD src0_sel:DWORD src1_sel:WORD_0
	global_load_dwordx4 v[102:105], v20, s[12:13]
	ds_read2_b32 v[34:35], v41 offset0:104 offset1:204
	ds_read2_b32 v[106:107], v81 offset0:80 offset1:180
	;; [unrolled: 1-line block ×4, first 2 shown]
	s_waitcnt vmcnt(9) lgkmcnt(3)
	v_mul_f32_e32 v20, v34, v13
	v_mul_f32_e32 v127, v71, v13
	s_waitcnt lgkmcnt(2)
	v_mul_f32_e32 v13, v106, v15
	v_mul_f32_e32 v128, v69, v15
	v_fma_f32 v20, v71, v12, -v20
	v_fmac_f32_e32 v127, v34, v12
	s_waitcnt vmcnt(8)
	v_mul_f32_e32 v12, v35, v17
	v_fma_f32 v129, v69, v14, -v13
	v_fmac_f32_e32 v128, v106, v14
	v_mul_f32_e32 v14, v107, v19
	v_mul_f32_e32 v71, v72, v17
	v_fma_f32 v72, v72, v16, -v12
	v_mul_f32_e32 v106, v70, v19
	ds_read2_b32 v[12:13], v83 offset0:120 offset1:220
	v_fma_f32 v130, v70, v18, -v14
	ds_read2_b32 v[14:15], v75 offset0:96 offset1:196
	v_fmac_f32_e32 v71, v35, v16
	v_fmac_f32_e32 v106, v107, v18
	s_waitcnt vmcnt(7)
	v_mul_f32_e32 v107, v65, v25
	s_waitcnt lgkmcnt(3)
	v_mul_f32_e32 v16, v108, v23
	s_waitcnt lgkmcnt(2)
	v_mul_f32_e32 v17, v110, v25
	v_mul_f32_e32 v131, v67, v23
	v_fmac_f32_e32 v107, v110, v24
	s_waitcnt vmcnt(6)
	v_mul_f32_e32 v110, v68, v27
	v_mul_f32_e32 v18, v111, v29
	v_fma_f32 v132, v67, v22, -v16
	v_mul_f32_e32 v16, v109, v27
	v_mul_f32_e32 v134, v66, v29
	v_fmac_f32_e32 v110, v109, v26
	v_fma_f32 v109, v66, v28, -v18
	ds_read2_b32 v[18:19], v84 offset0:40 offset1:140
	v_fmac_f32_e32 v131, v108, v22
	v_fma_f32 v108, v65, v24, -v17
	v_fma_f32 v133, v68, v26, -v16
	ds_read2_b32 v[16:17], v79 offset0:64 offset1:164
	s_waitcnt vmcnt(5) lgkmcnt(3)
	v_mul_f32_e32 v22, v12, v31
	v_fmac_f32_e32 v134, v111, v28
	v_mul_f32_e32 v111, v63, v31
	s_waitcnt lgkmcnt(2)
	v_mul_f32_e32 v23, v14, v33
	s_waitcnt vmcnt(4)
	v_mul_f32_e32 v42, v64, v87
	v_fma_f32 v135, v63, v30, -v22
	v_mul_f32_e32 v36, v57, v33
	v_mul_f32_e32 v22, v13, v87
	v_fmac_f32_e32 v111, v12, v30
	v_fma_f32 v136, v57, v32, -v23
	ds_read2_b32 v[23:24], v77 offset0:8 offset1:108
	v_fmac_f32_e32 v42, v13, v86
	ds_read2_b32 v[12:13], v80 offset0:112 offset1:212
	v_fmac_f32_e32 v36, v14, v32
	v_mul_f32_e32 v14, v15, v89
	v_fma_f32 v40, v64, v86, -v22
	v_mul_f32_e32 v57, v58, v89
	s_waitcnt vmcnt(3)
	v_mul_f32_e32 v63, v61, v91
	v_mul_f32_e32 v35, v59, v93
	v_fma_f32 v86, v58, v88, -v14
	s_waitcnt lgkmcnt(3)
	v_mul_f32_e32 v14, v18, v93
	v_fmac_f32_e32 v57, v15, v88
	s_waitcnt vmcnt(2)
	v_mul_f32_e32 v15, v19, v97
	s_waitcnt vmcnt(1)
	v_mul_f32_e32 v38, v53, v101
	s_waitcnt lgkmcnt(2)
	v_mul_f32_e32 v22, v16, v91
	v_fma_f32 v64, v59, v92, -v14
	v_mul_f32_e32 v14, v17, v95
	v_mul_f32_e32 v33, v60, v97
	v_fma_f32 v60, v60, v96, -v15
	v_mov_b32_e32 v31, 2
	v_fma_f32 v61, v61, v90, -v22
	v_fma_f32 v59, v62, v94, -v14
	s_waitcnt lgkmcnt(1)
	v_mul_f32_e32 v14, v23, v99
	s_waitcnt lgkmcnt(0)
	v_mul_f32_e32 v15, v12, v101
	v_fmac_f32_e32 v38, v12, v100
	v_mov_b32_e32 v12, 0x78
	v_fmac_f32_e32 v63, v16, v90
	v_mul_f32_e32 v58, v62, v95
	v_fma_f32 v22, v55, v98, -v14
	s_waitcnt vmcnt(0)
	v_mul_f32_e32 v14, v24, v103
	v_mul_f32_e32 v62, v54, v105
	v_mul_u32_u24_sdwa v8, v8, v12 dst_sel:DWORD dst_unused:UNUSED_PAD src0_sel:WORD_0 src1_sel:DWORD
	v_lshlrev_b32_sdwa v9, v31, v9 dst_sel:DWORD dst_unused:UNUSED_PAD src0_sel:DWORD src1_sel:BYTE_0
	v_add_f32_e32 v16, v20, v129
	v_fma_f32 v28, v53, v100, -v15
	v_fma_f32 v27, v56, v102, -v14
	v_mul_f32_e32 v14, v13, v105
	v_add_f32_e32 v15, v51, v20
	v_fmac_f32_e32 v62, v13, v104
	v_add3_u32 v88, 0, v8, v9
	v_fma_f32 v9, -0.5, v16, v51
	v_sub_f32_e32 v13, v127, v128
	v_fma_f32 v87, v54, v104, -v14
	v_add_f32_e32 v8, v15, v129
	v_add_f32_e32 v15, v72, v130
	v_mul_f32_e32 v34, v55, v99
	v_fmamk_f32 v14, v13, 0x3f5db3d7, v9
	v_fmac_f32_e32 v9, 0xbf5db3d7, v13
	v_mul_f32_e32 v32, v56, v103
	ds_read2_b32 v[53:54], v0 offset1:100
	ds_read2_b32 v[55:56], v82 offset0:72 offset1:172
	ds_read2_b32 v[65:66], v76 offset0:144 offset1:244
	;; [unrolled: 1-line block ×4, first 2 shown]
	s_waitcnt lgkmcnt(0)
	s_barrier
	buffer_gl0_inv
	v_add_f32_e32 v13, v52, v72
	v_mul_u32_u24_sdwa v7, v7, v12 dst_sel:DWORD dst_unused:UNUSED_PAD src0_sel:WORD_0 src1_sel:DWORD
	v_lshlrev_b32_sdwa v11, v31, v11 dst_sel:DWORD dst_unused:UNUSED_PAD src0_sel:DWORD src1_sel:BYTE_0
	v_fmac_f32_e32 v52, -0.5, v15
	v_sub_f32_e32 v12, v71, v106
	ds_write2_b32 v88, v8, v14 offset1:10
	ds_write_b32 v88, v9 offset:80
	v_add_f32_e32 v9, v132, v108
	v_add3_u32 v51, 0, v7, v11
	v_add_f32_e32 v7, v13, v130
	v_fmamk_f32 v8, v12, 0x3f5db3d7, v52
	v_fmac_f32_e32 v52, 0xbf5db3d7, v12
	v_lshlrev_b32_sdwa v11, v31, v113 dst_sel:DWORD dst_unused:UNUSED_PAD src0_sel:DWORD src1_sel:WORD_0
	v_add_f32_e32 v12, v49, v132
	v_fma_f32 v9, -0.5, v9, v49
	v_sub_f32_e32 v13, v131, v107
	ds_write2_b32 v51, v7, v8 offset1:10
	ds_write_b32 v51, v52 offset:80
	v_add3_u32 v49, 0, v10, v11
	v_add_f32_e32 v7, v12, v108
	v_add_f32_e32 v10, v133, v109
	v_fmamk_f32 v8, v13, 0x3f5db3d7, v9
	v_fmac_f32_e32 v9, 0xbf5db3d7, v13
	v_add_f32_e32 v11, v50, v133
	v_mul_u32_u24_e32 v12, 0x78, v112
	v_lshlrev_b32_sdwa v13, v31, v115 dst_sel:DWORD dst_unused:UNUSED_PAD src0_sel:DWORD src1_sel:WORD_0
	v_fmac_f32_e32 v50, -0.5, v10
	v_sub_f32_e32 v10, v110, v134
	ds_write2_b32 v49, v7, v8 offset1:10
	ds_write_b32 v49, v9 offset:80
	v_add_f32_e32 v9, v135, v136
	v_add3_u32 v89, 0, v12, v13
	v_add_f32_e32 v7, v11, v109
	v_fmamk_f32 v8, v10, 0x3f5db3d7, v50
	v_fmac_f32_e32 v50, 0xbf5db3d7, v10
	v_mul_u32_u24_e32 v10, 0x78, v114
	v_lshlrev_b32_sdwa v11, v31, v117 dst_sel:DWORD dst_unused:UNUSED_PAD src0_sel:DWORD src1_sel:WORD_0
	v_fma_f32 v9, -0.5, v9, v45
	v_sub_f32_e32 v13, v111, v36
	v_add_f32_e32 v12, v45, v135
	ds_write2_b32 v89, v7, v8 offset1:10
	ds_write_b32 v89, v50 offset:80
	v_add3_u32 v45, 0, v10, v11
	v_add_f32_e32 v10, v40, v86
	v_fmamk_f32 v8, v13, 0x3f5db3d7, v9
	v_fmac_f32_e32 v9, 0xbf5db3d7, v13
	v_add_f32_e32 v7, v12, v136
	v_mul_u32_u24_e32 v11, 0x78, v116
	v_lshlrev_b32_sdwa v12, v31, v118 dst_sel:DWORD dst_unused:UNUSED_PAD src0_sel:DWORD src1_sel:WORD_0
	v_add_f32_e32 v13, v46, v40
	v_fmac_f32_e32 v46, -0.5, v10
	ds_write_b32 v45, v9 offset:80
	v_mul_u32_u24_e32 v9, 0x78, v119
	v_lshlrev_b32_sdwa v10, v31, v121 dst_sel:DWORD dst_unused:UNUSED_PAD src0_sel:DWORD src1_sel:WORD_0
	v_fmac_f32_e32 v35, v18, v92
	ds_write2_b32 v45, v7, v8 offset1:10
	v_add3_u32 v50, 0, v11, v12
	v_sub_f32_e32 v8, v42, v57
	v_add_f32_e32 v11, v47, v61
	v_add_f32_e32 v12, v61, v64
	v_fmac_f32_e32 v58, v17, v94
	v_fmac_f32_e32 v33, v19, v96
	v_add3_u32 v90, 0, v9, v10
	v_add_f32_e32 v10, v59, v60
	v_add_f32_e32 v7, v13, v86
	v_fmamk_f32 v13, v8, 0x3f5db3d7, v46
	v_fmac_f32_e32 v46, 0xbf5db3d7, v8
	v_add_f32_e32 v8, v11, v64
	v_fma_f32 v9, -0.5, v12, v47
	v_sub_f32_e32 v11, v63, v35
	v_add_f32_e32 v12, v48, v59
	v_mul_u32_u24_e32 v14, 0x78, v120
	v_lshlrev_b32_sdwa v15, v31, v123 dst_sel:DWORD dst_unused:UNUSED_PAD src0_sel:DWORD src1_sel:WORD_0
	v_fmac_f32_e32 v48, -0.5, v10
	v_sub_f32_e32 v10, v58, v33
	v_fmamk_f32 v16, v11, 0x3f5db3d7, v9
	v_fmac_f32_e32 v9, 0xbf5db3d7, v11
	v_add3_u32 v93, 0, v14, v15
	v_add_f32_e32 v11, v12, v60
	v_fmamk_f32 v12, v10, 0x3f5db3d7, v48
	v_fmac_f32_e32 v34, v23, v98
	ds_write2_b32 v50, v7, v13 offset1:10
	ds_write_b32 v50, v46 offset:80
	ds_write2_b32 v90, v8, v16 offset1:10
	ds_write_b32 v90, v9 offset:80
	ds_write2_b32 v93, v11, v12 offset1:10
	v_add_f32_e32 v7, v22, v28
	v_fmac_f32_e32 v48, 0xbf5db3d7, v10
	v_mul_u32_u24_e32 v8, 0x78, v122
	v_lshlrev_b32_sdwa v9, v31, v125 dst_sel:DWORD dst_unused:UNUSED_PAD src0_sel:DWORD src1_sel:WORD_0
	v_add_f32_e32 v10, v43, v22
	v_fma_f32 v7, -0.5, v7, v43
	v_sub_f32_e32 v11, v34, v38
	v_fmac_f32_e32 v32, v24, v102
	v_add3_u32 v43, 0, v8, v9
	v_add_f32_e32 v8, v10, v28
	v_add_f32_e32 v9, v27, v87
	v_fmamk_f32 v10, v11, 0x3f5db3d7, v7
	v_fmac_f32_e32 v7, 0xbf5db3d7, v11
	ds_write_b32 v93, v48 offset:80
	v_add_f32_e32 v12, v44, v27
	v_mul_u32_u24_e32 v13, 0x78, v124
	v_lshlrev_b32_sdwa v14, v31, v126 dst_sel:DWORD dst_unused:UNUSED_PAD src0_sel:DWORD src1_sel:WORD_0
	v_fmac_f32_e32 v44, -0.5, v9
	v_sub_f32_e32 v9, v32, v62
	ds_write_b32 v43, v7 offset:80
	v_add_f32_e32 v7, v127, v128
	ds_write2_b32 v43, v8, v10 offset1:10
	v_add3_u32 v48, 0, v13, v14
	v_add_f32_e32 v8, v12, v87
	v_fmamk_f32 v10, v9, 0x3f5db3d7, v44
	v_fmac_f32_e32 v44, 0xbf5db3d7, v9
	v_add_f32_e32 v9, v53, v127
	v_sub_f32_e32 v94, v20, v129
	v_fma_f32 v95, -0.5, v7, v53
	v_add_f32_e32 v96, v71, v106
	ds_write2_b32 v48, v8, v10 offset1:10
	ds_write_b32 v48, v44 offset:80
	v_add_f32_e32 v44, v9, v128
	v_add_f32_e32 v71, v54, v71
	v_fmamk_f32 v97, v94, 0xbf5db3d7, v95
	v_fmac_f32_e32 v95, 0x3f5db3d7, v94
	v_fmac_f32_e32 v54, -0.5, v96
	v_sub_f32_e32 v72, v72, v130
	s_waitcnt lgkmcnt(0)
	s_barrier
	buffer_gl0_inv
	ds_read2_b32 v[7:8], v0 offset1:100
	ds_read2_b32 v[9:10], v82 offset0:72 offset1:172
	ds_read2_b32 v[46:47], v78 offset0:88 offset1:188
	;; [unrolled: 1-line block ×14, first 2 shown]
	s_waitcnt lgkmcnt(0)
	s_barrier
	buffer_gl0_inv
	ds_write2_b32 v88, v44, v97 offset1:10
	ds_write_b32 v88, v95 offset:80
	v_add_f32_e32 v44, v71, v106
	v_add_f32_e32 v71, v131, v107
	v_fmamk_f32 v88, v72, 0xbf5db3d7, v54
	v_fmac_f32_e32 v54, 0x3f5db3d7, v72
	v_add_f32_e32 v72, v55, v131
	v_sub_f32_e32 v94, v132, v108
	v_fma_f32 v55, -0.5, v71, v55
	ds_write2_b32 v51, v44, v88 offset1:10
	v_add_f32_e32 v44, v110, v134
	ds_write_b32 v51, v54 offset:80
	v_add_f32_e32 v51, v72, v107
	v_fmamk_f32 v54, v94, 0xbf5db3d7, v55
	v_add_f32_e32 v71, v56, v110
	v_fmac_f32_e32 v56, -0.5, v44
	v_sub_f32_e32 v44, v133, v109
	v_fmac_f32_e32 v55, 0x3f5db3d7, v94
	ds_write2_b32 v49, v51, v54 offset1:10
	v_add_f32_e32 v54, v111, v36
	v_add_f32_e32 v51, v71, v134
	v_fmamk_f32 v71, v44, 0xbf5db3d7, v56
	v_fmac_f32_e32 v56, 0x3f5db3d7, v44
	v_add_f32_e32 v44, v42, v57
	ds_write_b32 v49, v55 offset:80
	v_add_f32_e32 v49, v65, v111
	v_sub_f32_e32 v55, v135, v136
	v_fma_f32 v54, -0.5, v54, v65
	v_add_f32_e32 v42, v66, v42
	v_fmac_f32_e32 v66, -0.5, v44
	v_sub_f32_e32 v40, v40, v86
	v_add_f32_e32 v44, v63, v35
	v_add_f32_e32 v36, v49, v36
	v_fmamk_f32 v49, v55, 0xbf5db3d7, v54
	v_fmac_f32_e32 v54, 0x3f5db3d7, v55
	ds_write2_b32 v89, v51, v71 offset1:10
	ds_write_b32 v89, v56 offset:80
	ds_write2_b32 v45, v36, v49 offset1:10
	ds_write_b32 v45, v54 offset:80
	v_add_f32_e32 v36, v42, v57
	v_fmamk_f32 v42, v40, 0xbf5db3d7, v66
	v_add_f32_e32 v45, v67, v63
	v_fmac_f32_e32 v66, 0x3f5db3d7, v40
	v_add_f32_e32 v40, v58, v33
	v_sub_f32_e32 v49, v61, v64
	v_fma_f32 v44, -0.5, v44, v67
	v_add_f32_e32 v35, v45, v35
	v_add_f32_e32 v45, v68, v58
	v_fmac_f32_e32 v68, -0.5, v40
	v_sub_f32_e32 v40, v59, v60
	v_fmamk_f32 v51, v49, 0xbf5db3d7, v44
	v_fmac_f32_e32 v44, 0x3f5db3d7, v49
	v_add_f32_e32 v49, v69, v34
	v_add_f32_e32 v34, v34, v38
	;; [unrolled: 1-line block ×3, first 2 shown]
	v_fmamk_f32 v45, v40, 0xbf5db3d7, v68
	v_fmac_f32_e32 v68, 0x3f5db3d7, v40
	v_add_f32_e32 v40, v32, v62
	v_sub_f32_e32 v22, v22, v28
	v_fma_f32 v28, -0.5, v34, v69
	v_lshrrev_b16 v71, 12, v21
	v_add_f32_e32 v32, v70, v32
	v_fmac_f32_e32 v70, -0.5, v40
	v_sub_f32_e32 v21, v27, v87
	v_fmamk_f32 v27, v22, 0xbf5db3d7, v28
	v_fmac_f32_e32 v28, 0x3f5db3d7, v22
	v_mul_lo_u16 v22, v71, 30
	v_lshrrev_b16 v34, 12, v6
	v_add_f32_e32 v38, v49, v38
	v_fmamk_f32 v40, v21, 0xbf5db3d7, v70
	v_fmac_f32_e32 v70, 0x3f5db3d7, v21
	ds_write2_b32 v50, v36, v42 offset1:10
	v_sub_nc_u16 v86, v73, v22
	v_mov_b32_e32 v21, 9
	ds_write_b32 v50, v66 offset:80
	ds_write2_b32 v90, v35, v51 offset1:10
	ds_write_b32 v90, v44 offset:80
	ds_write2_b32 v93, v33, v45 offset1:10
	;; [unrolled: 2-line block ×3, first 2 shown]
	v_mul_lo_u16 v27, v34, 30
	v_mov_b32_e32 v6, 0x8889
	v_mul_u32_u24_sdwa v22, v86, v21 dst_sel:DWORD dst_unused:UNUSED_PAD src0_sel:BYTE_0 src1_sel:DWORD
	v_add_f32_e32 v32, v32, v62
	ds_write_b32 v43, v28 offset:80
	ds_write2_b32 v48, v32, v40 offset1:10
	v_sub_nc_u16 v35, v5, v27
	v_lshlrev_b32_e32 v22, 3, v22
	v_mul_u32_u24_sdwa v6, v37, v6 dst_sel:DWORD dst_unused:UNUSED_PAD src0_sel:WORD_0 src1_sel:DWORD
	ds_write_b32 v48, v70 offset:80
	s_waitcnt lgkmcnt(0)
	v_mul_u32_u24_sdwa v5, v35, v21 dst_sel:DWORD dst_unused:UNUSED_PAD src0_sel:BYTE_0 src1_sel:DWORD
	s_barrier
	buffer_gl0_inv
	global_load_dwordx4 v[42:45], v22, s[12:13] offset:160
	v_lshrrev_b32_e32 v32, 20, v6
	v_lshlrev_b32_e32 v5, 3, v5
	v_lshlrev_b32_sdwa v86, v31, v86 dst_sel:DWORD dst_unused:UNUSED_PAD src0_sel:DWORD src1_sel:BYTE_0
	v_lshlrev_b32_sdwa v35, v31, v35 dst_sel:DWORD dst_unused:UNUSED_PAD src0_sel:DWORD src1_sel:BYTE_0
	v_mul_lo_u16 v6, v32, 30
	global_load_dwordx4 v[48:51], v5, s[12:13] offset:160
	v_sub_nc_u16 v33, v37, v6
	v_mul_u32_u24_sdwa v6, v33, v21 dst_sel:DWORD dst_unused:UNUSED_PAD src0_sel:WORD_0 src1_sel:DWORD
	v_lshlrev_b32_e32 v6, 3, v6
	s_clause 0xc
	global_load_dwordx4 v[64:67], v6, s[12:13] offset:160
	global_load_dwordx4 v[87:90], v22, s[12:13] offset:176
	global_load_dwordx4 v[93:96], v5, s[12:13] offset:176
	global_load_dwordx4 v[97:100], v6, s[12:13] offset:176
	global_load_dwordx4 v[101:104], v22, s[12:13] offset:192
	global_load_dwordx4 v[105:108], v5, s[12:13] offset:192
	global_load_dwordx4 v[109:112], v6, s[12:13] offset:192
	global_load_dwordx4 v[113:116], v22, s[12:13] offset:208
	global_load_dwordx4 v[117:120], v5, s[12:13] offset:208
	global_load_dwordx4 v[121:124], v6, s[12:13] offset:208
	global_load_dwordx2 v[129:130], v22, s[12:13] offset:224
	global_load_dwordx2 v[21:22], v5, s[12:13] offset:224
	;; [unrolled: 1-line block ×3, first 2 shown]
	ds_read2_b32 v[5:6], v82 offset0:72 offset1:172
	ds_read2_b32 v[55:56], v78 offset0:88 offset1:188
	;; [unrolled: 1-line block ×5, first 2 shown]
	s_waitcnt vmcnt(14)
	v_mul_f32_e32 v61, v10, v43
	s_waitcnt lgkmcnt(4)
	v_mul_f32_e32 v36, v6, v43
	s_waitcnt lgkmcnt(3)
	v_mul_f32_e32 v40, v55, v45
	v_mul_f32_e32 v63, v46, v45
	v_fmac_f32_e32 v61, v6, v42
	v_fma_f32 v59, v10, v42, -v36
	s_waitcnt vmcnt(13)
	v_mul_f32_e32 v6, v56, v51
	v_mul_f32_e32 v38, v47, v51
	v_fma_f32 v10, v46, v44, -v40
	s_waitcnt lgkmcnt(2)
	v_mul_f32_e32 v36, v57, v49
	v_fmac_f32_e32 v63, v55, v44
	v_fma_f32 v55, v47, v50, -v6
	v_fmac_f32_e32 v38, v56, v50
	v_mul_f32_e32 v46, v91, v49
	ds_read2_b32 v[49:50], v41 offset0:104 offset1:204
	v_fma_f32 v43, v91, v48, -v36
	s_waitcnt vmcnt(12)
	v_mul_f32_e32 v6, v58, v65
	s_waitcnt lgkmcnt(2)
	v_mul_f32_e32 v36, v68, v67
	v_fmac_f32_e32 v46, v57, v48
	s_waitcnt vmcnt(11) lgkmcnt(1)
	v_mul_f32_e32 v40, v131, v90
	ds_read2_b32 v[56:57], v83 offset0:120 offset1:220
	v_fma_f32 v44, v92, v64, -v6
	v_mul_f32_e32 v6, v52, v67
	v_fma_f32 v51, v52, v66, -v36
	v_mul_f32_e32 v36, v69, v88
	v_mul_f32_e32 v47, v92, v65
	;; [unrolled: 1-line block ×3, first 2 shown]
	v_fmac_f32_e32 v6, v68, v66
	s_waitcnt vmcnt(10)
	v_mul_f32_e32 v48, v126, v96
	v_fma_f32 v92, v53, v87, -v36
	v_fma_f32 v36, v125, v89, -v40
	v_mul_f32_e32 v40, v132, v96
	ds_read2_b32 v[65:66], v77 offset0:8 offset1:108
	v_fmac_f32_e32 v67, v131, v89
	s_waitcnt lgkmcnt(2)
	v_mul_f32_e32 v42, v49, v94
	v_mul_f32_e32 v89, v127, v94
	v_fma_f32 v62, v126, v95, -v40
	v_fmac_f32_e32 v48, v132, v95
	ds_read2_b32 v[95:96], v81 offset0:80 offset1:180
	v_fma_f32 v90, v127, v93, -v42
	v_fmac_f32_e32 v89, v49, v93
	ds_read2_b32 v[93:94], v79 offset0:64 offset1:164
	v_mul_f32_e32 v91, v53, v88
	s_waitcnt vmcnt(9)
	v_mul_f32_e32 v45, v50, v98
	s_waitcnt lgkmcnt(3)
	v_mul_f32_e32 v42, v56, v100
	v_fmac_f32_e32 v47, v58, v64
	v_mul_f32_e32 v40, v29, v100
	v_fmac_f32_e32 v91, v69, v87
	v_fma_f32 v88, v128, v97, -v45
	v_mul_f32_e32 v87, v128, v98
	s_waitcnt vmcnt(8)
	v_mul_f32_e32 v45, v57, v102
	v_fma_f32 v58, v29, v99, -v42
	v_mul_f32_e32 v69, v25, v104
	s_waitcnt vmcnt(7) lgkmcnt(2)
	v_mul_f32_e32 v42, v66, v108
	v_mul_f32_e32 v72, v30, v102
	v_fmac_f32_e32 v87, v50, v97
	v_fma_f32 v29, v30, v101, -v45
	v_mul_f32_e32 v30, v65, v104
	ds_read2_b32 v[49:50], v75 offset0:96 offset1:196
	v_fmac_f32_e32 v69, v65, v103
	v_fma_f32 v65, v26, v107, -v42
	v_mul_f32_e32 v54, v23, v106
	s_waitcnt vmcnt(6)
	v_mul_f32_e32 v42, v24, v110
	s_waitcnt lgkmcnt(2)
	v_mul_f32_e32 v45, v95, v112
	ds_read2_b32 v[97:98], v74 offset0:152 offset1:252
	v_mul_f32_e32 v53, v26, v108
	v_fma_f32 v25, v25, v103, -v30
	s_waitcnt lgkmcnt(2)
	v_mul_f32_e32 v26, v93, v106
	v_mul_f32_e32 v30, v94, v110
	v_fmac_f32_e32 v54, v93, v105
	v_fmac_f32_e32 v42, v94, v109
	v_fma_f32 v64, v19, v111, -v45
	v_mul_f32_e32 v45, v19, v112
	s_waitcnt vmcnt(5)
	v_mul_f32_e32 v19, v20, v114
	ds_read2_b32 v[93:94], v84 offset0:40 offset1:140
	v_fma_f32 v26, v23, v105, -v26
	v_fma_f32 v23, v24, v109, -v30
	v_mul_f32_e32 v24, v96, v114
	v_fmac_f32_e32 v45, v95, v111
	v_fmac_f32_e32 v19, v96, v113
	ds_read2_b32 v[95:96], v80 offset0:112 offset1:212
	v_mul_f32_e32 v70, v17, v116
	s_waitcnt lgkmcnt(3)
	v_mul_f32_e32 v30, v49, v116
	v_fma_f32 v24, v20, v113, -v24
	s_waitcnt vmcnt(4)
	v_mul_f32_e32 v20, v50, v120
	v_fmac_f32_e32 v40, v56, v99
	v_fmac_f32_e32 v70, v49, v115
	s_waitcnt vmcnt(3) lgkmcnt(2)
	v_mul_f32_e32 v49, v98, v122
	v_fma_f32 v17, v17, v115, -v30
	v_mul_f32_e32 v56, v18, v120
	v_mul_f32_e32 v30, v97, v118
	v_fma_f32 v68, v18, v119, -v20
	v_fma_f32 v18, v16, v121, -v49
	v_mul_f32_e32 v49, v16, v122
	s_waitcnt lgkmcnt(1)
	v_mul_f32_e32 v16, v93, v124
	v_fmac_f32_e32 v53, v66, v107
	v_fma_f32 v20, v15, v117, -v30
	s_waitcnt vmcnt(2)
	v_mul_f32_e32 v30, v94, v130
	v_fmac_f32_e32 v72, v57, v101
	v_fma_f32 v66, v13, v123, -v16
	s_waitcnt vmcnt(0) lgkmcnt(0)
	v_mul_f32_e32 v16, v96, v28
	v_mul_f32_e32 v57, v15, v118
	v_fmac_f32_e32 v56, v50, v119
	v_mul_f32_e32 v50, v13, v124
	v_mul_f32_e32 v15, v14, v130
	v_fma_f32 v13, v14, v129, -v30
	v_mul_f32_e32 v14, v95, v22
	v_mul_f32_e32 v60, v11, v22
	v_mul_f32_e32 v52, v12, v28
	v_add_f32_e32 v28, v58, v64
	v_fma_f32 v12, v12, v27, -v16
	v_fmac_f32_e32 v49, v98, v121
	v_fma_f32 v22, v11, v21, -v14
	v_fmac_f32_e32 v60, v95, v21
	v_fmac_f32_e32 v52, v96, v27
	v_fma_f32 v11, -0.5, v28, v9
	v_add_f32_e32 v14, v51, v66
	v_sub_f32_e32 v21, v58, v51
	v_sub_f32_e32 v27, v64, v66
	v_add_f32_e32 v28, v23, v18
	v_add_f32_e32 v30, v88, v12
	v_fmac_f32_e32 v50, v93, v123
	v_add_f32_e32 v16, v9, v51
	v_fmac_f32_e32 v9, -0.5, v14
	v_add_f32_e32 v14, v21, v27
	v_fma_f32 v93, -0.5, v28, v44
	v_add_f32_e32 v27, v44, v88
	v_add_f32_e32 v21, v42, v49
	v_fmac_f32_e32 v44, -0.5, v30
	v_add_f32_e32 v30, v87, v52
	v_fmac_f32_e32 v15, v94, v129
	v_sub_f32_e32 v28, v23, v88
	v_sub_f32_e32 v98, v18, v12
	v_fma_f32 v94, -0.5, v21, v47
	v_add_f32_e32 v95, v47, v87
	v_fmac_f32_e32 v47, -0.5, v30
	v_sub_f32_e32 v30, v42, v87
	v_sub_f32_e32 v99, v49, v52
	v_add_f32_e32 v28, v28, v98
	v_add_f32_e32 v98, v62, v65
	v_fmac_f32_e32 v57, v97, v117
	v_add_f32_e32 v112, v8, v55
	v_add_f32_e32 v30, v30, v99
	;; [unrolled: 1-line block ×3, first 2 shown]
	v_fma_f32 v111, -0.5, v98, v8
	v_add_f32_e32 v98, v26, v20
	v_sub_f32_e32 v100, v26, v90
	v_sub_f32_e32 v101, v20, v22
	v_fmac_f32_e32 v8, -0.5, v99
	v_add_f32_e32 v99, v90, v22
	v_sub_f32_e32 v106, v42, v49
	v_fma_f32 v98, -0.5, v98, v43
	v_add_f32_e32 v113, v43, v90
	v_add_f32_e32 v114, v100, v101
	v_fmac_f32_e32 v43, -0.5, v99
	v_add_f32_e32 v99, v54, v57
	v_add_f32_e32 v100, v89, v60
	v_sub_f32_e32 v101, v54, v89
	v_sub_f32_e32 v115, v57, v60
	;; [unrolled: 1-line block ×4, first 2 shown]
	v_fmamk_f32 v97, v106, 0xbf737871, v44
	v_fmac_f32_e32 v44, 0x3f737871, v106
	v_sub_f32_e32 v109, v87, v52
	v_fma_f32 v99, -0.5, v99, v46
	v_add_f32_e32 v102, v46, v89
	v_fmac_f32_e32 v46, -0.5, v100
	v_add_f32_e32 v115, v101, v115
	v_sub_f32_e32 v117, v26, v20
	v_fmamk_f32 v101, v116, 0xbf737871, v43
	v_fmac_f32_e32 v43, 0x3f737871, v116
	v_sub_f32_e32 v118, v89, v60
	v_sub_f32_e32 v105, v40, v45
	v_fmamk_f32 v96, v107, 0x3f737871, v47
	v_fmac_f32_e32 v47, 0xbf737871, v107
	v_sub_f32_e32 v110, v88, v12
	v_fmac_f32_e32 v44, 0xbf167918, v109
	v_sub_f32_e32 v119, v48, v53
	v_fmamk_f32 v100, v117, 0x3f737871, v46
	v_fmac_f32_e32 v46, 0xbf737871, v117
	v_sub_f32_e32 v120, v90, v22
	v_fmac_f32_e32 v43, 0xbf167918, v118
	v_fmamk_f32 v21, v105, 0xbf737871, v9
	v_fmac_f32_e32 v9, 0x3f737871, v105
	v_sub_f32_e32 v108, v6, v50
	v_fmac_f32_e32 v47, 0x3f167918, v110
	v_fmac_f32_e32 v44, 0x3e9e377a, v28
	v_sub_f32_e32 v103, v62, v55
	v_sub_f32_e32 v104, v65, v68
	v_fmamk_f32 v121, v119, 0xbf737871, v8
	v_fmac_f32_e32 v8, 0x3f737871, v119
	v_sub_f32_e32 v122, v38, v56
	v_fmac_f32_e32 v46, 0x3f167918, v120
	v_fmac_f32_e32 v43, 0x3e9e377a, v114
	;; [unrolled: 1-line block ×4, first 2 shown]
	v_mul_f32_e32 v123, 0x3e9e377a, v44
	v_add_f32_e32 v124, v103, v104
	v_fmac_f32_e32 v8, 0xbf167918, v122
	v_fmac_f32_e32 v46, 0x3e9e377a, v115
	v_mul_f32_e32 v103, 0x3e9e377a, v43
	v_fmac_f32_e32 v9, 0x3e9e377a, v14
	v_fma_f32 v104, 0x3f737871, v47, -v123
	v_fmac_f32_e32 v8, 0x3e9e377a, v124
	v_sub_f32_e32 v128, v92, v29
	v_fma_f32 v103, 0x3f737871, v46, -v103
	v_sub_f32_e32 v130, v13, v24
	v_add_f32_e32 v126, v9, v104
	v_sub_f32_e32 v9, v9, v104
	v_sub_f32_e32 v104, v17, v25
	v_add_f32_e32 v127, v8, v103
	v_sub_f32_e32 v8, v8, v103
	v_sub_f32_e32 v103, v10, v36
	v_add_f32_e32 v128, v128, v130
	v_add_f32_e32 v125, v10, v17
	v_mov_b32_e32 v129, 0x4b0
	v_sub_f32_e32 v142, v67, v69
	v_add_f32_e32 v133, v103, v104
	v_add_f32_e32 v103, v72, v19
	v_fma_f32 v125, -0.5, v125, v7
	v_mul_u32_u24_sdwa v71, v71, v129 dst_sel:DWORD dst_unused:UNUSED_PAD src0_sel:WORD_0 src1_sel:DWORD
	v_sub_f32_e32 v131, v91, v72
	v_sub_f32_e32 v132, v15, v19
	v_fma_f32 v130, -0.5, v103, v61
	v_add_f32_e32 v103, v59, v92
	v_add_f32_e32 v104, v29, v24
	v_sub_f32_e32 v134, v92, v13
	v_sub_f32_e32 v137, v29, v24
	;; [unrolled: 1-line block ×3, first 2 shown]
	v_add_f32_e32 v103, v103, v29
	v_add3_u32 v71, 0, v71, v86
	v_sub_f32_e32 v144, v36, v10
	v_sub_f32_e32 v145, v25, v17
	v_fmamk_f32 v146, v142, 0xbf737871, v125
	v_add_f32_e32 v103, v103, v24
	v_fmac_f32_e32 v125, 0x3f737871, v142
	v_add_f32_e32 v147, v92, v13
	v_sub_f32_e32 v29, v29, v92
	v_add_f32_e32 v131, v131, v132
	v_add_f32_e32 v86, v103, v13
	v_sub_f32_e32 v13, v24, v13
	v_add_f32_e32 v24, v91, v15
	v_fma_f32 v132, -0.5, v104, v59
	v_sub_f32_e32 v140, v72, v19
	v_add_f32_e32 v144, v144, v145
	v_fmac_f32_e32 v146, 0x3f167918, v138
	v_fmac_f32_e32 v125, 0xbf167918, v138
	v_fmac_f32_e32 v59, -0.5, v147
	v_add_f32_e32 v13, v29, v13
	v_add_f32_e32 v29, v61, v91
	v_fmac_f32_e32 v61, -0.5, v24
	v_sub_f32_e32 v135, v91, v15
	v_add_f32_e32 v123, v36, v25
	v_fmamk_f32 v136, v134, 0xbf737871, v130
	v_fmac_f32_e32 v146, 0x3e9e377a, v144
	v_fmac_f32_e32 v125, 0x3e9e377a, v144
	v_fmamk_f32 v92, v140, 0xbf737871, v59
	v_fmac_f32_e32 v59, 0x3f737871, v140
	v_sub_f32_e32 v24, v72, v91
	v_sub_f32_e32 v91, v19, v15
	v_fmamk_f32 v144, v137, 0x3f737871, v61
	v_fmamk_f32 v139, v135, 0x3f737871, v132
	v_fmac_f32_e32 v132, 0xbf737871, v135
	v_fma_f32 v123, -0.5, v123, v7
	v_add_f32_e32 v7, v7, v10
	v_fmac_f32_e32 v136, 0xbf167918, v137
	v_fmac_f32_e32 v59, 0xbf167918, v135
	v_fmac_f32_e32 v61, 0xbf737871, v137
	v_add_f32_e32 v24, v24, v91
	v_fmac_f32_e32 v144, 0xbf167918, v134
	v_fmac_f32_e32 v130, 0x3f737871, v134
	;; [unrolled: 1-line block ×3, first 2 shown]
	v_add_f32_e32 v7, v7, v36
	v_fmamk_f32 v141, v138, 0x3f737871, v123
	v_fmac_f32_e32 v139, 0x3f167918, v140
	v_fmac_f32_e32 v136, 0x3e9e377a, v131
	v_fmac_f32_e32 v92, 0x3f167918, v135
	v_fmac_f32_e32 v61, 0x3f167918, v134
	v_fmac_f32_e32 v59, 0x3e9e377a, v13
	v_fmac_f32_e32 v144, 0x3e9e377a, v24
	v_fmac_f32_e32 v123, 0xbf737871, v138
	v_fmac_f32_e32 v130, 0x3f167918, v137
	v_fmac_f32_e32 v132, 0x3e9e377a, v128
	v_add_f32_e32 v7, v7, v25
	v_fmac_f32_e32 v141, 0x3f167918, v142
	v_fmac_f32_e32 v139, 0x3e9e377a, v128
	v_mul_f32_e32 v143, 0x3f167918, v136
	v_fmac_f32_e32 v92, 0x3e9e377a, v13
	v_fmac_f32_e32 v61, 0x3e9e377a, v24
	v_mul_f32_e32 v13, 0x3f737871, v144
	v_mul_f32_e32 v24, 0x3e9e377a, v59
	v_fmac_f32_e32 v123, 0xbf167918, v142
	v_fmac_f32_e32 v130, 0x3e9e377a, v131
	v_mul_f32_e32 v91, 0x3f4f1bbd, v132
	v_add_f32_e32 v7, v7, v17
	v_fmac_f32_e32 v141, 0x3e9e377a, v133
	v_fmac_f32_e32 v143, 0x3f4f1bbd, v139
	;; [unrolled: 1-line block ×3, first 2 shown]
	v_fma_f32 v24, 0x3f737871, v61, -v24
	v_fmac_f32_e32 v123, 0x3e9e377a, v133
	v_fma_f32 v91, 0x3f167918, v130, -v91
	v_add_f32_e32 v148, v7, v86
	v_add_f32_e32 v128, v141, v143
	;; [unrolled: 1-line block ×4, first 2 shown]
	v_sub_f32_e32 v7, v7, v86
	v_add_f32_e32 v134, v123, v91
	v_sub_f32_e32 v86, v141, v143
	v_sub_f32_e32 v13, v146, v13
	ds_read2_b32 v[103:104], v0 offset1:100
	s_waitcnt lgkmcnt(0)
	s_barrier
	buffer_gl0_inv
	ds_write2_b32 v71, v148, v128 offset1:30
	ds_write2_b32 v71, v131, v133 offset0:60 offset1:90
	ds_write2_b32 v71, v134, v7 offset0:120 offset1:150
	;; [unrolled: 1-line block ×3, first 2 shown]
	v_add_f32_e32 v13, v113, v26
	v_sub_f32_e32 v26, v90, v26
	v_sub_f32_e32 v89, v89, v54
	;; [unrolled: 1-line block ×4, first 2 shown]
	v_add_f32_e32 v13, v13, v20
	v_sub_f32_e32 v24, v123, v91
	v_sub_f32_e32 v86, v55, v62
	;; [unrolled: 1-line block ×4, first 2 shown]
	v_add_f32_e32 v13, v13, v22
	v_add_f32_e32 v22, v89, v90
	v_fmamk_f32 v89, v120, 0xbf737871, v99
	v_add_f32_e32 v86, v86, v91
	v_fmamk_f32 v91, v118, 0x3f737871, v98
	v_fmac_f32_e32 v98, 0xbf737871, v118
	v_add_f32_e32 v20, v26, v20
	v_mul_u32_u24_sdwa v26, v34, v129 dst_sel:DWORD dst_unused:UNUSED_PAD src0_sel:WORD_0 src1_sel:DWORD
	v_add_f32_e32 v34, v112, v62
	v_fmac_f32_e32 v89, 0xbf167918, v117
	v_fmac_f32_e32 v100, 0xbf167918, v120
	;; [unrolled: 1-line block ×4, first 2 shown]
	v_fmamk_f32 v90, v122, 0x3f737871, v111
	v_add_f32_e32 v34, v34, v65
	v_fmac_f32_e32 v91, 0x3f167918, v116
	v_fmac_f32_e32 v89, 0x3e9e377a, v22
	;; [unrolled: 1-line block ×8, first 2 shown]
	v_add3_u32 v112, 0, v26, v35
	v_add_f32_e32 v26, v34, v68
	v_fmac_f32_e32 v91, 0x3e9e377a, v20
	v_mul_f32_e32 v34, 0x3f167918, v89
	v_fmac_f32_e32 v121, 0x3f167918, v122
	v_fmac_f32_e32 v101, 0x3e9e377a, v114
	v_mul_f32_e32 v20, 0x3f737871, v100
	v_fmac_f32_e32 v111, 0xbf167918, v119
	;; [unrolled: 3-line block ×3, first 2 shown]
	v_fmac_f32_e32 v34, 0x3f4f1bbd, v91
	v_fmac_f32_e32 v121, 0x3e9e377a, v124
	;; [unrolled: 1-line block ×4, first 2 shown]
	v_fma_f32 v22, 0x3f167918, v99, -v22
	v_add_nc_u32_e32 v113, 0x200, v71
	v_add_f32_e32 v35, v26, v13
	v_add_f32_e32 v86, v90, v34
	;; [unrolled: 1-line block ×3, first 2 shown]
	v_sub_f32_e32 v13, v26, v13
	v_add_f32_e32 v26, v111, v22
	v_sub_f32_e32 v34, v90, v34
	v_sub_f32_e32 v20, v121, v20
	ds_write2_b32 v113, v7, v24 offset0:112 offset1:142
	ds_write2_b32 v112, v35, v86 offset1:30
	ds_write2_b32 v112, v114, v127 offset0:60 offset1:90
	ds_write2_b32 v112, v26, v13 offset0:120 offset1:150
	;; [unrolled: 1-line block ×3, first 2 shown]
	v_add_f32_e32 v7, v27, v23
	v_sub_f32_e32 v23, v88, v23
	v_sub_f32_e32 v24, v87, v42
	;; [unrolled: 1-line block ×3, first 2 shown]
	v_fmamk_f32 v87, v110, 0xbf737871, v94
	v_add_f32_e32 v7, v7, v18
	v_sub_f32_e32 v18, v12, v18
	v_fmamk_f32 v88, v109, 0x3f737871, v93
	v_fmac_f32_e32 v93, 0xbf737871, v109
	v_sub_f32_e32 v13, v111, v22
	v_sub_f32_e32 v20, v51, v58
	;; [unrolled: 1-line block ×3, first 2 shown]
	v_add_f32_e32 v7, v7, v12
	v_add_f32_e32 v12, v23, v18
	;; [unrolled: 1-line block ×3, first 2 shown]
	v_fmac_f32_e32 v87, 0xbf167918, v107
	v_fmac_f32_e32 v96, 0xbf167918, v110
	;; [unrolled: 1-line block ×4, first 2 shown]
	v_add_f32_e32 v20, v20, v22
	v_lshlrev_b32_sdwa v22, v31, v33 dst_sel:DWORD dst_unused:UNUSED_PAD src0_sel:DWORD src1_sel:WORD_0
	v_add_f32_e32 v16, v16, v58
	v_fmamk_f32 v23, v108, 0x3f737871, v11
	v_mul_u32_u24_e32 v24, 0x4b0, v32
	v_fmac_f32_e32 v88, 0x3f167918, v106
	v_fmac_f32_e32 v87, 0x3e9e377a, v18
	;; [unrolled: 1-line block ×7, first 2 shown]
	v_add_f32_e32 v16, v16, v64
	v_fmac_f32_e32 v23, 0x3f167918, v105
	v_add3_u32 v90, 0, v24, v22
	v_fmac_f32_e32 v88, 0x3e9e377a, v12
	v_mul_f32_e32 v22, 0x3f167918, v87
	v_fmac_f32_e32 v21, 0x3f167918, v108
	v_fmac_f32_e32 v97, 0x3e9e377a, v28
	v_mul_f32_e32 v12, 0x3f737871, v96
	v_fmac_f32_e32 v11, 0xbf167918, v105
	v_fmac_f32_e32 v94, 0x3e9e377a, v18
	v_mul_f32_e32 v18, 0x3f4f1bbd, v93
	v_add_f32_e32 v16, v16, v66
	v_fmac_f32_e32 v23, 0x3e9e377a, v20
	v_fmac_f32_e32 v22, 0x3f4f1bbd, v88
	;; [unrolled: 1-line block ×5, first 2 shown]
	v_fma_f32 v14, 0x3f167918, v94, -v18
	v_add_nc_u32_e32 v86, 0x200, v112
	v_add_f32_e32 v18, v16, v7
	v_add_f32_e32 v20, v23, v22
	;; [unrolled: 1-line block ×3, first 2 shown]
	v_sub_f32_e32 v7, v16, v7
	v_add_f32_e32 v16, v11, v14
	v_sub_f32_e32 v22, v23, v22
	v_sub_f32_e32 v12, v21, v12
	ds_write2_b32 v86, v8, v13 offset0:112 offset1:142
	ds_write2_b32 v90, v18, v20 offset1:30
	ds_write2_b32 v90, v24, v126 offset0:60 offset1:90
	ds_write2_b32 v90, v16, v7 offset0:120 offset1:150
	;; [unrolled: 1-line block ×3, first 2 shown]
	v_add_f32_e32 v8, v67, v69
	v_sub_f32_e32 v7, v11, v14
	v_add_f32_e32 v11, v29, v72
	v_sub_f32_e32 v72, v10, v17
	v_add_f32_e32 v10, v103, v63
	v_add_f32_e32 v33, v63, v70
	v_fma_f32 v106, -0.5, v8, v103
	v_sub_f32_e32 v8, v63, v67
	v_sub_f32_e32 v12, v70, v69
	;; [unrolled: 1-line block ×3, first 2 shown]
	v_add_f32_e32 v10, v10, v67
	v_fma_f32 v103, -0.5, v33, v103
	v_fmamk_f32 v108, v72, 0xbf737871, v106
	v_add_f32_e32 v109, v8, v12
	v_sub_f32_e32 v63, v67, v63
	v_add_f32_e32 v8, v10, v69
	v_sub_f32_e32 v67, v69, v70
	v_fmamk_f32 v69, v107, 0x3f737871, v103
	v_fmac_f32_e32 v103, 0xbf737871, v107
	v_add_f32_e32 v11, v11, v19
	v_mul_f32_e32 v110, 0xbf167918, v139
	v_fmac_f32_e32 v108, 0xbf167918, v107
	v_add_f32_e32 v114, v8, v70
	v_add_f32_e32 v63, v63, v67
	v_fmac_f32_e32 v69, 0xbf167918, v72
	v_fmac_f32_e32 v103, 0x3f167918, v72
	v_mul_f32_e32 v70, 0xbf737871, v92
	v_mul_f32_e32 v61, 0x3e9e377a, v61
	v_add_f32_e32 v111, v11, v15
	v_fmac_f32_e32 v110, 0x3f4f1bbd, v136
	v_fmac_f32_e32 v108, 0x3e9e377a, v109
	;; [unrolled: 1-line block ×5, first 2 shown]
	v_fma_f32 v59, 0xbf737871, v59, -v61
	v_add_nc_u32_e32 v105, 0x200, v90
	v_add_f32_e32 v67, v114, v111
	v_fmac_f32_e32 v106, 0x3f737871, v72
	v_add_f32_e32 v61, v108, v110
	v_add_f32_e32 v72, v69, v70
	;; [unrolled: 1-line block ×3, first 2 shown]
	ds_write2_b32 v105, v9, v7 offset0:112 offset1:142
	s_waitcnt lgkmcnt(0)
	s_barrier
	buffer_gl0_inv
	ds_read2_b32 v[7:8], v0 offset1:100
	ds_read2_b32 v[9:10], v82 offset0:72 offset1:172
	ds_read2_b32 v[19:20], v78 offset0:88 offset1:188
	;; [unrolled: 1-line block ×14, first 2 shown]
	s_waitcnt lgkmcnt(0)
	s_barrier
	v_fmac_f32_e32 v106, 0x3f167918, v107
	buffer_gl0_inv
	ds_write2_b32 v71, v67, v61 offset1:30
	ds_write2_b32 v71, v72, v92 offset0:60 offset1:90
	v_add_f32_e32 v67, v48, v53
	v_sub_f32_e32 v92, v108, v110
	v_sub_f32_e32 v62, v62, v65
	v_add_f32_e32 v65, v38, v56
	v_sub_f32_e32 v107, v48, v38
	v_sub_f32_e32 v108, v53, v56
	v_fmac_f32_e32 v106, 0x3e9e377a, v109
	v_fma_f32 v67, -0.5, v67, v104
	v_add_f32_e32 v109, v104, v38
	v_fmac_f32_e32 v104, -0.5, v65
	v_sub_f32_e32 v55, v55, v68
	v_add_f32_e32 v65, v40, v45
	v_add_f32_e32 v68, v107, v108
	v_add_f32_e32 v107, v6, v50
	v_sub_f32_e32 v58, v58, v64
	v_mul_f32_e32 v63, 0x3f4f1bbd, v130
	v_fma_f32 v64, -0.5, v65, v5
	v_add_f32_e32 v65, v5, v6
	v_fmac_f32_e32 v5, -0.5, v107
	v_sub_f32_e32 v51, v51, v66
	v_sub_f32_e32 v66, v40, v6
	;; [unrolled: 1-line block ×3, first 2 shown]
	v_fma_f32 v63, 0xbf167918, v132, -v63
	v_fmamk_f32 v110, v58, 0x3f737871, v5
	v_fmac_f32_e32 v5, 0xbf737871, v58
	v_mul_f32_e32 v47, 0x3e9e377a, v47
	v_add_f32_e32 v66, v66, v107
	v_sub_f32_e32 v61, v114, v111
	v_add_f32_e32 v72, v106, v63
	v_fmac_f32_e32 v5, 0x3f167918, v51
	v_fma_f32 v44, 0xbf737871, v44, -v47
	v_sub_f32_e32 v69, v69, v70
	ds_write2_b32 v71, v72, v61 offset0:120 offset1:150
	ds_write2_b32 v71, v92, v69 offset0:180 offset1:210
	v_fmac_f32_e32 v5, 0x3e9e377a, v66
	v_add_f32_e32 v61, v109, v48
	v_sub_f32_e32 v38, v38, v48
	v_sub_f32_e32 v48, v56, v53
	v_fmamk_f32 v108, v62, 0x3f737871, v104
	v_add_f32_e32 v47, v5, v44
	v_sub_f32_e32 v5, v5, v44
	v_sub_f32_e32 v44, v103, v59
	;; [unrolled: 1-line block ×3, first 2 shown]
	v_fmamk_f32 v63, v55, 0xbf737871, v67
	v_fmac_f32_e32 v67, 0x3f737871, v55
	v_fmac_f32_e32 v104, 0xbf737871, v62
	v_add_f32_e32 v53, v61, v53
	v_add_f32_e32 v61, v65, v40
	v_fmac_f32_e32 v63, 0xbf167918, v62
	v_fmac_f32_e32 v67, 0x3f167918, v62
	v_sub_f32_e32 v6, v6, v40
	v_sub_f32_e32 v40, v50, v45
	v_fmamk_f32 v62, v51, 0xbf737871, v64
	v_fmac_f32_e32 v64, 0x3f737871, v51
	v_add_f32_e32 v54, v102, v54
	v_add_f32_e32 v38, v38, v48
	;; [unrolled: 1-line block ×5, first 2 shown]
	v_fmac_f32_e32 v62, 0xbf167918, v58
	v_fmac_f32_e32 v64, 0x3f167918, v58
	v_add_f32_e32 v48, v54, v57
	v_fmac_f32_e32 v63, 0x3e9e377a, v38
	v_fmac_f32_e32 v67, 0x3e9e377a, v38
	v_mul_f32_e32 v38, 0xbf167918, v91
	v_mul_f32_e32 v46, 0x3e9e377a, v46
	v_fmac_f32_e32 v104, 0x3f167918, v55
	v_fmac_f32_e32 v108, 0xbf167918, v55
	v_mul_f32_e32 v54, 0xbf737871, v101
	v_mul_f32_e32 v55, 0x3f4f1bbd, v99
	v_fmac_f32_e32 v110, 0xbf167918, v51
	v_add_f32_e32 v40, v42, v49
	v_add_f32_e32 v42, v45, v50
	v_fmac_f32_e32 v62, 0x3e9e377a, v6
	v_mul_f32_e32 v45, 0xbf167918, v88
	v_fmac_f32_e32 v64, 0x3e9e377a, v6
	v_mul_f32_e32 v6, 0xbf737871, v97
	v_mul_f32_e32 v49, 0x3f4f1bbd, v94
	v_add_f32_e32 v53, v53, v56
	v_add_f32_e32 v48, v48, v60
	v_fmac_f32_e32 v38, 0x3f4f1bbd, v89
	v_fma_f32 v43, 0xbf737871, v43, -v46
	v_fmac_f32_e32 v104, 0x3e9e377a, v68
	v_fmac_f32_e32 v108, 0x3e9e377a, v68
	;; [unrolled: 1-line block ×3, first 2 shown]
	v_fma_f32 v55, 0xbf167918, v98, -v55
	v_add_f32_e32 v40, v40, v52
	v_fmac_f32_e32 v45, 0x3f4f1bbd, v87
	v_fmac_f32_e32 v110, 0x3e9e377a, v66
	;; [unrolled: 1-line block ×3, first 2 shown]
	v_fma_f32 v49, 0xbf167918, v93, -v49
	v_add_f32_e32 v56, v53, v48
	v_sub_f32_e32 v48, v53, v48
	v_add_f32_e32 v53, v63, v38
	v_add_f32_e32 v46, v104, v43
	;; [unrolled: 1-line block ×4, first 2 shown]
	v_sub_f32_e32 v38, v63, v38
	v_sub_f32_e32 v54, v108, v54
	;; [unrolled: 1-line block ×4, first 2 shown]
	v_add_f32_e32 v50, v42, v40
	v_add_f32_e32 v51, v62, v45
	v_sub_f32_e32 v40, v42, v40
	v_add_f32_e32 v42, v110, v6
	v_sub_f32_e32 v45, v62, v45
	;; [unrolled: 2-line block ×3, first 2 shown]
	v_sub_f32_e32 v49, v64, v49
	ds_write2_b32 v113, v44, v59 offset0:112 offset1:142
	ds_write2_b32 v112, v56, v53 offset1:30
	ds_write2_b32 v112, v57, v46 offset0:60 offset1:90
	ds_write2_b32 v112, v60, v48 offset0:120 offset1:150
	;; [unrolled: 1-line block ×4, first 2 shown]
	ds_write2_b32 v90, v50, v51 offset1:30
	ds_write2_b32 v90, v42, v47 offset0:60 offset1:90
	ds_write2_b32 v90, v52, v40 offset0:120 offset1:150
	ds_write2_b32 v90, v45, v6 offset0:180 offset1:210
	ds_write2_b32 v105, v5, v49 offset0:112 offset1:142
	s_waitcnt lgkmcnt(0)
	s_barrier
	buffer_gl0_inv
	s_and_saveexec_b32 s2, vcc_lo
	s_cbranch_execz .LBB0_15
; %bb.14:
	v_mul_u32_u24_e32 v5, 9, v37
	v_mov_b32_e32 v6, 0
	v_mul_u32_u24_e32 v63, 9, v73
	v_lshlrev_b32_e32 v5, 3, v5
	v_lshlrev_b32_e32 v63, 3, v63
	v_add_co_u32 v40, s2, s12, v5
	v_mad_u32_u24 v5, v37, 9, 0xfffffc7c
	v_add_co_ci_u32_e64 v42, null, s13, 0, s2
	v_add_co_u32 v37, vcc_lo, 0x800, v40
	v_lshlrev_b64 v[48:49], 3, v[5:6]
	v_add_co_ci_u32_e32 v38, vcc_lo, 0, v42, vcc_lo
	v_add_co_u32 v46, vcc_lo, 0x910, v40
	v_add_co_ci_u32_e32 v47, vcc_lo, 0, v42, vcc_lo
	v_add_co_u32 v5, vcc_lo, s12, v48
	v_add_co_ci_u32_e32 v40, vcc_lo, s13, v49, vcc_lo
	s_clause 0x3
	global_load_dwordx4 v[42:45], v[37:38], off offset:272
	global_load_dwordx4 v[57:60], v[46:47], off offset:48
	;; [unrolled: 1-line block ×4, first 2 shown]
	v_add_co_u32 v46, vcc_lo, 0x800, v5
	v_add_co_ci_u32_e32 v47, vcc_lo, 0, v40, vcc_lo
	global_load_dwordx2 v[37:38], v[37:38], off offset:336
	v_add_co_u32 v48, vcc_lo, 0x910, v5
	v_add_co_ci_u32_e32 v49, vcc_lo, 0, v40, vcc_lo
	s_clause 0x4
	global_load_dwordx4 v[86:89], v[46:47], off offset:272
	global_load_dwordx4 v[90:93], v[48:49], off offset:16
	;; [unrolled: 1-line block ×4, first 2 shown]
	global_load_dwordx2 v[61:62], v[46:47], off offset:336
	v_mul_lo_u32 v5, s1, v3
	v_mul_lo_u32 v46, s0, v4
	v_mad_u64_u32 v[3:4], null, s0, v3, 0
	ds_read2_b32 v[51:52], v85 offset0:32 offset1:132
	ds_read2_b32 v[55:56], v83 offset0:120 offset1:220
	;; [unrolled: 1-line block ×12, first 2 shown]
	v_add_co_u32 v39, s0, s12, v63
	v_add_co_ci_u32_e64 v63, null, s13, 0, s0
	ds_read2_b32 v[118:119], v75 offset0:96 offset1:196
	v_add_co_u32 v120, vcc_lo, 0x800, v39
	v_add_co_ci_u32_e32 v121, vcc_lo, 0, v63, vcc_lo
	v_add_co_u32 v102, vcc_lo, 0x910, v39
	v_add_co_ci_u32_e32 v103, vcc_lo, 0, v63, vcc_lo
	ds_read2_b32 v[122:123], v77 offset0:8 offset1:108
	ds_read2_b32 v[63:64], v0 offset1:100
	s_clause 0x4
	global_load_dwordx4 v[74:77], v[120:121], off offset:272
	global_load_dwordx4 v[78:81], v[102:103], off offset:48
	;; [unrolled: 1-line block ×4, first 2 shown]
	global_load_dwordx2 v[120:121], v[120:121], off offset:336
	v_add3_u32 v4, v4, v46, v5
	s_waitcnt vmcnt(14) lgkmcnt(14)
	v_mul_f32_e32 v0, v44, v51
	s_waitcnt vmcnt(13) lgkmcnt(12)
	v_mul_f32_e32 v39, v59, v47
	;; [unrolled: 2-line block ×3, first 2 shown]
	s_waitcnt vmcnt(11)
	v_mul_f32_e32 v5, v71, v55
	v_mul_f32_e32 v51, v45, v51
	;; [unrolled: 1-line block ×3, first 2 shown]
	s_waitcnt lgkmcnt(9)
	v_mul_f32_e32 v124, v70, v41
	s_waitcnt lgkmcnt(8)
	v_mul_f32_e32 v125, v66, v107
	s_waitcnt vmcnt(10) lgkmcnt(7)
	v_mul_f32_e32 v126, v38, v109
	s_waitcnt lgkmcnt(6)
	v_mul_f32_e32 v127, v58, v111
	v_mul_f32_e32 v41, v69, v41
	;; [unrolled: 1-line block ×7, first 2 shown]
	s_waitcnt lgkmcnt(5)
	v_mul_f32_e32 v128, v43, v113
	s_waitcnt vmcnt(9) lgkmcnt(4)
	v_mul_f32_e32 v129, v88, v115
	s_waitcnt vmcnt(8) lgkmcnt(3)
	;; [unrolled: 2-line block ×4, first 2 shown]
	v_mul_f32_e32 v132, v100, v123
	v_mul_f32_e32 v136, v95, v110
	;; [unrolled: 1-line block ×3, first 2 shown]
	v_fmac_f32_e32 v0, v11, v45
	v_fmac_f32_e32 v5, v17, v72
	v_fmac_f32_e32 v39, v15, v60
	v_fmac_f32_e32 v46, v13, v68
	v_fma_f32 v11, v11, v44, -v51
	v_fma_f32 v15, v15, v59, -v47
	;; [unrolled: 1-line block ×6, first 2 shown]
	v_fmac_f32_e32 v41, v32, v70
	v_fmac_f32_e32 v109, v36, v38
	;; [unrolled: 1-line block ×4, first 2 shown]
	v_mul_f32_e32 v113, v42, v113
	v_mul_f32_e32 v119, v97, v119
	;; [unrolled: 1-line block ×4, first 2 shown]
	s_waitcnt vmcnt(5)
	v_mul_f32_e32 v135, v62, v108
	v_mul_f32_e32 v137, v87, v112
	;; [unrolled: 1-line block ×6, first 2 shown]
	v_fma_f32 v17, v17, v71, -v55
	v_fma_f32 v13, v13, v67, -v53
	;; [unrolled: 1-line block ×3, first 2 shown]
	v_fmac_f32_e32 v129, v20, v89
	v_fmac_f32_e32 v130, v22, v93
	;; [unrolled: 1-line block ×4, first 2 shown]
	v_fma_f32 v59, v33, v94, -v136
	v_fmac_f32_e32 v110, v33, v95
	v_add_f32_e32 v30, v5, v46
	v_add_f32_e32 v33, v45, v47
	v_sub_f32_e32 v36, v41, v107
	v_sub_f32_e32 v38, v109, v111
	v_add_f32_e32 v69, v44, v37
	v_mul_f32_e32 v117, v93, v117
	v_mul_f32_e32 v123, v101, v123
	;; [unrolled: 1-line block ×3, first 2 shown]
	v_fmac_f32_e32 v113, v28, v43
	v_fma_f32 v51, v26, v96, -v119
	v_fma_f32 v53, v31, v90, -v133
	;; [unrolled: 1-line block ×5, first 2 shown]
	v_fmac_f32_e32 v40, v31, v91
	v_fmac_f32_e32 v108, v35, v62
	;; [unrolled: 1-line block ×4, first 2 shown]
	v_sub_f32_e32 v26, v0, v5
	v_sub_f32_e32 v27, v39, v46
	;; [unrolled: 1-line block ×7, first 2 shown]
	v_add_f32_e32 v60, v107, v111
	v_sub_f32_e32 v62, v5, v0
	v_sub_f32_e32 v65, v46, v39
	;; [unrolled: 1-line block ×4, first 2 shown]
	v_add_f32_e32 v72, v41, v109
	v_sub_f32_e32 v87, v11, v17
	v_add_f32_e32 v89, v17, v13
	v_sub_f32_e32 v91, v17, v11
	v_add_f32_e32 v93, v11, v15
	v_add_f32_e32 v11, v9, v11
	;; [unrolled: 1-line block ×3, first 2 shown]
	v_sub_f32_e32 v94, v129, v130
	v_sub_f32_e32 v95, v131, v132
	v_add_f32_e32 v36, v36, v38
	v_fma_f32 v38, -0.5, v30, v49
	v_fma_f32 v30, -0.5, v33, v42
	;; [unrolled: 1-line block ×3, first 2 shown]
	v_fma_f32 v22, v22, v92, -v117
	v_fma_f32 v24, v24, v100, -v123
	v_fma_f32 v20, v20, v88, -v115
	v_sub_f32_e32 v28, v17, v13
	v_sub_f32_e32 v34, v41, v109
	;; [unrolled: 1-line block ×3, first 2 shown]
	v_add_f32_e32 v66, v0, v39
	v_add_f32_e32 v86, v0, v49
	v_sub_f32_e32 v90, v5, v46
	v_sub_f32_e32 v92, v13, v15
	v_add_f32_e32 v98, v130, v132
	v_sub_f32_e32 v99, v53, v55
	v_sub_f32_e32 v100, v57, v59
	;; [unrolled: 1-line block ×5, first 2 shown]
	v_add_f32_e32 v26, v26, v27
	v_add_f32_e32 v27, v40, v108
	;; [unrolled: 1-line block ×3, first 2 shown]
	s_waitcnt lgkmcnt(0)
	v_add_f32_e32 v32, v129, v64
	v_add_f32_e32 v139, v40, v112
	v_fma_f32 v33, -0.5, v60, v113
	v_add_f32_e32 v40, v62, v65
	v_add_f32_e32 v60, v67, v68
	v_fma_f32 v65, -0.5, v72, v113
	v_fma_f32 v67, -0.5, v89, v9
	;; [unrolled: 1-line block ×3, first 2 shown]
	v_add_f32_e32 v11, v11, v17
	v_add_f32_e32 v17, v45, v44
	;; [unrolled: 1-line block ×3, first 2 shown]
	v_fmamk_f32 v95, v35, 0x3f737871, v42
	v_fmac_f32_e32 v42, 0xbf737871, v35
	v_sub_f32_e32 v70, v107, v41
	v_sub_f32_e32 v71, v111, v109
	v_add_f32_e32 v41, v41, v113
	v_sub_f32_e32 v88, v15, v13
	v_sub_f32_e32 v0, v0, v39
	v_fma_f32 v49, -0.5, v66, v49
	v_add_f32_e32 v5, v5, v86
	v_add_f32_e32 v68, v91, v92
	v_fma_f32 v69, -0.5, v98, v64
	v_add_f32_e32 v45, v99, v100
	v_fma_f32 v91, -0.5, v27, v112
	v_add_f32_e32 v27, v130, v32
	v_fmamk_f32 v92, v29, 0x3f737871, v38
	v_fmamk_f32 v32, v34, 0xbf737871, v30
	;; [unrolled: 1-line block ×4, first 2 shown]
	v_fmac_f32_e32 v65, 0x3f737871, v43
	v_fmac_f32_e32 v38, 0xbf737871, v29
	;; [unrolled: 1-line block ×4, first 2 shown]
	v_fmamk_f32 v99, v90, 0x3f737871, v9
	v_fmac_f32_e32 v9, 0xbf737871, v90
	v_add_f32_e32 v11, v11, v13
	v_add_f32_e32 v13, v47, v17
	v_fmac_f32_e32 v42, 0x3f167918, v34
	v_sub_f32_e32 v97, v20, v51
	v_add_f32_e32 v101, v55, v59
	v_add_f32_e32 v126, v106, v110
	;; [unrolled: 1-line block ×4, first 2 shown]
	v_fmamk_f32 v94, v28, 0xbf737871, v49
	v_fmac_f32_e32 v49, 0x3f737871, v28
	v_add_f32_e32 v5, v46, v5
	v_fmamk_f32 v46, v0, 0xbf737871, v67
	v_fmac_f32_e32 v67, 0x3f737871, v0
	v_fmac_f32_e32 v92, 0x3f167918, v28
	;; [unrolled: 1-line block ×10, first 2 shown]
	v_add_f32_e32 v0, v15, v11
	v_add_f32_e32 v11, v37, v13
	v_fmac_f32_e32 v42, 0x3e9e377a, v60
	v_sub_f32_e32 v96, v22, v24
	v_sub_f32_e32 v124, v55, v59
	;; [unrolled: 1-line block ×3, first 2 shown]
	v_add_f32_e32 v136, v53, v57
	v_fma_f32 v70, -0.5, v101, v61
	v_fma_f32 v72, -0.5, v126, v112
	v_add_f32_e32 v41, v111, v41
	v_fmamk_f32 v17, v97, 0x3f737871, v69
	v_fmac_f32_e32 v69, 0xbf737871, v97
	v_fmac_f32_e32 v95, 0xbf167918, v34
	;; [unrolled: 1-line block ×10, first 2 shown]
	v_sub_f32_e32 v26, v0, v11
	v_add_f32_e32 v36, v0, v11
	v_mul_f32_e32 v11, 0xbf737871, v42
	v_sub_f32_e32 v117, v106, v110
	v_sub_f32_e32 v123, v108, v110
	;; [unrolled: 1-line block ×3, first 2 shown]
	v_add_f32_e32 v66, v87, v88
	v_fma_f32 v88, -0.5, v136, v61
	v_fmamk_f32 v100, v115, 0xbf737871, v70
	v_fmamk_f32 v101, v125, 0x3f737871, v72
	;; [unrolled: 1-line block ×3, first 2 shown]
	v_fmac_f32_e32 v70, 0x3f737871, v115
	v_fmac_f32_e32 v98, 0x3f167918, v58
	v_add_f32_e32 v5, v39, v5
	v_add_f32_e32 v28, v109, v41
	v_fmac_f32_e32 v46, 0xbf167918, v90
	v_fmac_f32_e32 v17, 0x3f167918, v96
	;; [unrolled: 1-line block ×5, first 2 shown]
	v_mul_f32_e32 v13, 0xbf167918, v30
	v_mul_f32_e32 v15, 0x3f4f1bbd, v32
	v_fmac_f32_e32 v11, 0x3e9e377a, v65
	v_sub_f32_e32 v134, v55, v53
	v_sub_f32_e32 v135, v59, v57
	v_add_f32_e32 v71, v119, v123
	v_add_f32_e32 v89, v137, v138
	v_fmamk_f32 v111, v117, 0x3f737871, v88
	v_fmac_f32_e32 v88, 0xbf737871, v117
	v_add_f32_e32 v113, v132, v27
	v_fmac_f32_e32 v94, 0x3f167918, v29
	v_fmac_f32_e32 v67, 0x3f167918, v90
	;; [unrolled: 1-line block ×7, first 2 shown]
	v_sub_f32_e32 v27, v5, v28
	v_fmac_f32_e32 v46, 0x3e9e377a, v66
	v_add_f32_e32 v37, v5, v28
	v_fmac_f32_e32 v17, 0x3e9e377a, v44
	v_fmac_f32_e32 v69, 0x3e9e377a, v44
	v_mul_f32_e32 v28, 0x3e9e377a, v95
	v_mul_f32_e32 v44, 0x3f737871, v65
	;; [unrolled: 1-line block ×3, first 2 shown]
	v_fmac_f32_e32 v13, 0x3f4f1bbd, v33
	v_fma_f32 v15, 0x3f167918, v93, -v15
	v_sub_f32_e32 v33, v49, v11
	v_add_f32_e32 v43, v49, v11
	v_add_f32_e32 v11, v106, v139
	;; [unrolled: 1-line block ×3, first 2 shown]
	v_fmac_f32_e32 v91, 0x3f737871, v124
	v_fmac_f32_e32 v72, 0xbf737871, v125
	;; [unrolled: 1-line block ×11, first 2 shown]
	v_mul_f32_e32 v0, 0x3f4f1bbd, v93
	v_mul_f32_e32 v5, 0x3e9e377a, v98
	v_fma_f32 v40, 0x3f737871, v98, -v28
	v_fmac_f32_e32 v44, 0x3e9e377a, v42
	v_fmac_f32_e32 v47, 0x3f4f1bbd, v30
	v_sub_f32_e32 v35, v38, v13
	v_sub_f32_e32 v28, v46, v15
	v_add_f32_e32 v45, v38, v13
	v_add_f32_e32 v38, v46, v15
	;; [unrolled: 1-line block ×5, first 2 shown]
	v_fmac_f32_e32 v91, 0xbf167918, v125
	v_fmac_f32_e32 v72, 0xbf167918, v124
	;; [unrolled: 1-line block ×4, first 2 shown]
	v_mul_f32_e32 v29, 0x3f4f1bbd, v101
	v_mul_f32_e32 v31, 0x3e9e377a, v112
	v_fma_f32 v0, 0xbf167918, v32, -v0
	v_fma_f32 v5, 0xbf737871, v95, -v5
	v_sub_f32_e32 v32, v9, v44
	v_sub_f32_e32 v34, v67, v47
	v_add_f32_e32 v42, v9, v44
	v_add_f32_e32 v44, v67, v47
	v_sub_f32_e32 v13, v20, v22
	v_sub_f32_e32 v15, v51, v24
	;; [unrolled: 1-line block ×3, first 2 shown]
	v_fma_f32 v87, -0.5, v46, v8
	v_add_f32_e32 v90, v108, v11
	v_mul_f32_e32 v11, 0x3f4f1bbd, v100
	v_fmac_f32_e32 v91, 0x3e9e377a, v89
	v_fmac_f32_e32 v72, 0x3e9e377a, v71
	v_fma_f32 v65, 0xbf167918, v100, -v29
	v_fma_f32 v71, 0xbf737871, v111, -v31
	v_sub_f32_e32 v29, v92, v0
	v_sub_f32_e32 v31, v94, v5
	v_add_f32_e32 v39, v92, v0
	v_add_f32_e32 v41, v94, v5
	v_fma_f32 v0, -0.5, v140, v8
	v_sub_f32_e32 v5, v129, v131
	v_add_f32_e32 v13, v13, v15
	v_sub_f32_e32 v15, v22, v20
	v_sub_f32_e32 v46, v24, v51
	v_fmamk_f32 v89, v67, 0x3f737871, v87
	v_fma_f32 v92, 0x3f167918, v101, -v11
	v_fmac_f32_e32 v87, 0xbf737871, v67
	v_add_f32_e32 v11, v8, v20
	v_add_f32_e32 v20, v53, v61
	v_fmamk_f32 v49, v5, 0xbf737871, v0
	v_add_f32_e32 v15, v15, v46
	v_fmac_f32_e32 v89, 0xbf167918, v5
	v_fmac_f32_e32 v87, 0x3f167918, v5
	;; [unrolled: 1-line block ×3, first 2 shown]
	v_add_f32_e32 v5, v11, v22
	v_add_f32_e32 v11, v55, v20
	v_mul_f32_e32 v22, 0x3f167918, v72
	v_fmac_f32_e32 v99, 0x3e9e377a, v68
	v_mul_f32_e32 v68, 0xbf167918, v70
	v_fmac_f32_e32 v89, 0x3e9e377a, v15
	v_fmac_f32_e32 v87, 0x3e9e377a, v15
	v_add_f32_e32 v5, v5, v24
	v_add_f32_e32 v11, v59, v11
	v_fmac_f32_e32 v22, 0x3f4f1bbd, v70
	s_waitcnt vmcnt(4)
	v_mul_f32_e32 v53, v76, v114
	s_waitcnt vmcnt(1)
	v_mul_f32_e32 v55, v104, v116
	v_mul_f32_e32 v70, v84, v122
	;; [unrolled: 1-line block ×3, first 2 shown]
	v_sub_f32_e32 v47, v17, v65
	v_fmac_f32_e32 v49, 0xbf167918, v67
	v_fmac_f32_e32 v0, 0x3f167918, v67
	v_add_f32_e32 v5, v51, v5
	v_add_f32_e32 v24, v57, v11
	v_fmac_f32_e32 v53, v19, v77
	v_mul_f32_e32 v67, v80, v118
	v_fmac_f32_e32 v55, v21, v105
	v_add_f32_e32 v11, v17, v65
	v_fmac_f32_e32 v70, v23, v85
	v_mul_f32_e32 v51, v81, v118
	v_mul_f32_e32 v65, v105, v116
	v_fma_f32 v76, v19, v76, -v15
	v_mul_f32_e32 v19, v103, v52
	v_add_f32_e32 v133, v129, v131
	v_fmac_f32_e32 v68, 0x3f4f1bbd, v72
	v_fmac_f32_e32 v67, v25, v81
	v_mul_f32_e32 v72, v85, v122
	v_fma_f32 v77, v25, v80, -v51
	v_fma_f32 v65, v21, v104, -v65
	v_add_f32_e32 v15, v55, v70
	v_mul_f32_e32 v21, v83, v56
	v_fma_f32 v81, v12, v102, -v19
	v_mul_f32_e32 v19, v79, v54
	v_mul_f32_e32 v25, v82, v56
	;; [unrolled: 1-line block ×3, first 2 shown]
	v_fma_f32 v64, -0.5, v133, v64
	v_fma_f32 v72, v23, v84, -v72
	v_fma_f32 v80, -0.5, v15, v63
	s_waitcnt vmcnt(0)
	v_mul_f32_e32 v15, v121, v48
	v_fma_f32 v84, v18, v82, -v21
	v_mul_f32_e32 v21, v75, v50
	v_fma_f32 v56, v14, v78, -v19
	v_mul_f32_e32 v52, v102, v52
	v_fmac_f32_e32 v25, v18, v83
	v_mul_f32_e32 v50, v74, v50
	v_fmac_f32_e32 v51, v14, v79
	v_mul_f32_e32 v48, v120, v48
	v_sub_f32_e32 v127, v130, v129
	v_sub_f32_e32 v128, v132, v131
	v_fmamk_f32 v107, v96, 0xbf737871, v64
	v_mul_f32_e32 v20, 0x3f737871, v91
	v_fma_f32 v85, v16, v120, -v15
	v_fma_f32 v54, v10, v74, -v21
	v_add_f32_e32 v14, v84, v56
	v_fmac_f32_e32 v52, v12, v103
	v_fmac_f32_e32 v50, v10, v75
	v_add_f32_e32 v10, v25, v51
	v_fmac_f32_e32 v48, v16, v121
	v_add_f32_e32 v86, v127, v128
	v_fmac_f32_e32 v64, 0x3f737871, v96
	v_fmac_f32_e32 v107, 0x3f167918, v97
	;; [unrolled: 1-line block ×3, first 2 shown]
	v_fma_f32 v74, -0.5, v14, v54
	v_sub_f32_e32 v75, v81, v85
	v_fma_f32 v78, -0.5, v10, v50
	v_sub_f32_e32 v10, v52, v25
	v_sub_f32_e32 v14, v48, v51
	v_fmac_f32_e32 v64, 0xbf167918, v97
	v_fmac_f32_e32 v107, 0x3e9e377a, v86
	v_mul_f32_e32 v66, 0xbf737871, v88
	v_fmac_f32_e32 v0, 0x3e9e377a, v13
	v_sub_f32_e32 v57, v87, v20
	v_sub_f32_e32 v79, v52, v48
	;; [unrolled: 1-line block ×3, first 2 shown]
	v_fmamk_f32 v83, v75, 0x3f737871, v78
	v_add_f32_e32 v94, v10, v14
	v_add_f32_e32 v14, v87, v20
	;; [unrolled: 1-line block ×3, first 2 shown]
	v_fmac_f32_e32 v64, 0x3e9e377a, v86
	v_fmac_f32_e32 v66, 0x3e9e377a, v91
	v_sub_f32_e32 v9, v107, v71
	v_add_f32_e32 v86, v131, v113
	v_fmac_f32_e32 v49, 0x3e9e377a, v13
	v_mul_f32_e32 v46, 0x3e9e377a, v111
	v_sub_f32_e32 v59, v0, v22
	v_add_f32_e32 v13, v107, v71
	v_sub_f32_e32 v17, v53, v55
	v_sub_f32_e32 v71, v67, v70
	;; [unrolled: 1-line block ×4, first 2 shown]
	v_fmamk_f32 v88, v79, 0xbf737871, v74
	v_sub_f32_e32 v91, v25, v51
	v_fmac_f32_e32 v83, 0x3f167918, v82
	v_add_f32_e32 v16, v0, v22
	v_add_f32_e32 v22, v81, v85
	v_fma_f32 v20, -0.5, v20, v50
	v_sub_f32_e32 v58, v64, v66
	v_sub_f32_e32 v60, v69, v68
	;; [unrolled: 1-line block ×3, first 2 shown]
	v_fma_f32 v93, 0x3f737871, v112, -v46
	v_sub_f32_e32 v46, v49, v92
	v_add_f32_e32 v97, v12, v15
	v_fmac_f32_e32 v88, 0xbf167918, v91
	v_fmac_f32_e32 v83, 0x3e9e377a, v94
	v_add_f32_e32 v15, v64, v66
	v_add_f32_e32 v64, v17, v71
	;; [unrolled: 1-line block ×6, first 2 shown]
	v_sub_f32_e32 v49, v84, v81
	v_fma_f32 v22, -0.5, v22, v54
	v_sub_f32_e32 v68, v56, v85
	v_sub_f32_e32 v69, v25, v52
	;; [unrolled: 1-line block ×3, first 2 shown]
	v_fmamk_f32 v86, v82, 0xbf737871, v20
	v_sub_f32_e32 v95, v65, v72
	v_fmac_f32_e32 v88, 0x3e9e377a, v97
	v_mul_f32_e32 v12, 0x3f4f1bbd, v83
	v_fma_f32 v0, -0.5, v0, v63
	v_fmamk_f32 v87, v91, 0x3f737871, v22
	v_add_f32_e32 v49, v49, v68
	v_add_f32_e32 v68, v69, v71
	v_fmac_f32_e32 v86, 0x3f167918, v75
	v_sub_f32_e32 v8, v89, v93
	v_sub_f32_e32 v61, v5, v24
	;; [unrolled: 1-line block ×3, first 2 shown]
	v_fma_f32 v66, 0xbf167918, v88, -v12
	v_add_f32_e32 v12, v89, v93
	v_add_f32_e32 v18, v5, v24
	v_sub_f32_e32 v5, v55, v53
	v_sub_f32_e32 v24, v70, v67
	v_fmamk_f32 v89, v95, 0xbf737871, v0
	v_fmac_f32_e32 v87, 0xbf167918, v79
	v_fmac_f32_e32 v86, 0x3e9e377a, v68
	;; [unrolled: 1-line block ×3, first 2 shown]
	v_add_f32_e32 v5, v5, v24
	v_fmac_f32_e32 v89, 0x3f167918, v23
	v_fmac_f32_e32 v87, 0x3e9e377a, v49
	v_mul_f32_e32 v24, 0x3e9e377a, v86
	v_fmac_f32_e32 v0, 0xbf167918, v23
	v_fmamk_f32 v96, v23, 0x3f737871, v80
	v_fmac_f32_e32 v89, 0x3e9e377a, v5
	v_fmac_f32_e32 v80, 0xbf737871, v23
	v_fma_f32 v69, 0xbf737871, v87, -v24
	v_fmac_f32_e32 v0, 0x3e9e377a, v5
	v_add_f32_e32 v5, v53, v63
	v_add_f32_e32 v24, v52, v50
	v_fmac_f32_e32 v22, 0xbf737871, v91
	v_fmac_f32_e32 v20, 0x3f737871, v82
	v_sub_f32_e32 v50, v55, v70
	v_add_f32_e32 v5, v55, v5
	v_add_f32_e32 v23, v25, v24
	;; [unrolled: 1-line block ×3, first 2 shown]
	v_fmac_f32_e32 v22, 0x3f167918, v79
	v_fmac_f32_e32 v20, 0xbf167918, v75
	v_add_f32_e32 v5, v70, v5
	v_add_f32_e32 v23, v51, v23
	v_fma_f32 v70, -0.5, v24, v7
	v_sub_f32_e32 v24, v77, v72
	v_fmac_f32_e32 v22, 0x3e9e377a, v49
	v_add_f32_e32 v63, v67, v5
	v_add_f32_e32 v71, v48, v23
	;; [unrolled: 1-line block ×3, first 2 shown]
	v_sub_f32_e32 v48, v76, v65
	v_fmac_f32_e32 v74, 0x3f737871, v79
	v_fmac_f32_e32 v78, 0xbf737871, v75
	v_fmamk_f32 v79, v50, 0x3f737871, v70
	v_fma_f32 v75, -0.5, v5, v7
	v_sub_f32_e32 v5, v53, v67
	v_add_f32_e32 v24, v48, v24
	v_mul_f32_e32 v48, 0x3f4f1bbd, v88
	v_fmac_f32_e32 v70, 0xbf737871, v50
	v_add_f32_e32 v7, v7, v76
	v_fmac_f32_e32 v20, 0x3e9e377a, v68
	v_mul_f32_e32 v68, 0xbf737871, v22
	v_fmac_f32_e32 v78, 0xbf167918, v82
	v_fmamk_f32 v67, v5, 0xbf737871, v75
	v_fmac_f32_e32 v79, 0xbf167918, v5
	v_fma_f32 v82, 0x3f167918, v83, -v48
	v_fmac_f32_e32 v70, 0x3f167918, v5
	v_add_f32_e32 v48, v81, v54
	v_fmac_f32_e32 v75, 0x3f737871, v5
	v_add_f32_e32 v5, v7, v65
	v_fmac_f32_e32 v74, 0x3f167918, v91
	v_fmac_f32_e32 v68, 0x3e9e377a, v20
	v_mul_f32_e32 v7, 0x3f737871, v20
	v_add_f32_e32 v20, v84, v48
	v_add_f32_e32 v5, v5, v72
	v_fmac_f32_e32 v74, 0x3e9e377a, v97
	v_fmac_f32_e32 v80, 0xbf167918, v95
	;; [unrolled: 1-line block ×3, first 2 shown]
	v_add_f32_e32 v20, v56, v20
	v_add_f32_e32 v56, v77, v5
	v_mul_hi_u32 v5, 0x1b4e81b5, v73
	v_mul_f32_e32 v52, 0xbf167918, v74
	v_sub_f32_e32 v53, v65, v76
	v_sub_f32_e32 v55, v72, v77
	v_fmac_f32_e32 v67, 0xbf167918, v50
	v_fmac_f32_e32 v96, 0x3f167918, v95
	;; [unrolled: 1-line block ×4, first 2 shown]
	v_add_f32_e32 v53, v53, v55
	v_fmac_f32_e32 v67, 0x3e9e377a, v24
	v_mul_f32_e32 v55, 0x3e9e377a, v87
	v_lshrrev_b32_e32 v54, 5, v5
	v_fmac_f32_e32 v96, 0x3e9e377a, v64
	v_sub_f32_e32 v25, v0, v68
	v_sub_f32_e32 v49, v80, v52
	v_fma_f32 v76, 0x3f737871, v86, -v55
	v_add_f32_e32 v72, v85, v20
	v_sub_f32_e32 v20, v67, v82
	v_add_f32_e32 v55, v0, v68
	v_add_f32_e32 v64, v80, v52
	v_mul_u32_u24_e32 v0, 0x12c, v54
	v_add_f32_e32 v52, v67, v82
	v_lshlrev_b64 v[67:68], 3, v[3:4]
	v_fmac_f32_e32 v70, 0x3e9e377a, v53
	v_fmac_f32_e32 v75, 0x3f167918, v50
	;; [unrolled: 1-line block ×3, first 2 shown]
	v_sub_nc_u32_e32 v3, v73, v0
	v_lshlrev_b64 v[0:1], 3, v[1:2]
	v_add_co_u32 v2, vcc_lo, s10, v67
	v_mul_f32_e32 v65, 0x3f167918, v78
	v_fmac_f32_e32 v75, 0x3e9e377a, v24
	v_sub_f32_e32 v24, v70, v7
	v_add_f32_e32 v54, v70, v7
	v_add_co_ci_u32_e32 v7, vcc_lo, s11, v68, vcc_lo
	v_sub_f32_e32 v21, v96, v66
	v_sub_f32_e32 v51, v63, v71
	v_fmac_f32_e32 v79, 0x3e9e377a, v53
	v_add_f32_e32 v53, v96, v66
	v_add_f32_e32 v66, v63, v71
	v_lshlrev_b32_e32 v3, 3, v3
	v_add_co_u32 v71, vcc_lo, v2, v0
	v_fmac_f32_e32 v65, 0x3f4f1bbd, v74
	v_add_co_ci_u32_e32 v74, vcc_lo, v7, v1, vcc_lo
	v_add_co_u32 v0, vcc_lo, v71, v3
	v_sub_f32_e32 v48, v75, v65
	v_add_co_ci_u32_e32 v1, vcc_lo, 0, v74, vcc_lo
	v_add_co_u32 v2, vcc_lo, 0x800, v0
	v_add_f32_e32 v63, v75, v65
	v_add_co_ci_u32_e32 v3, vcc_lo, 0, v1, vcc_lo
	v_add_co_u32 v67, vcc_lo, 0x1000, v0
	v_add_f32_e32 v65, v56, v72
	v_add_co_ci_u32_e32 v68, vcc_lo, 0, v1, vcc_lo
	v_add_nc_u32_e32 v7, 0x64, v73
	v_sub_f32_e32 v23, v89, v69
	v_add_f32_e32 v5, v89, v69
	v_add_co_u32 v69, vcc_lo, 0x1800, v0
	v_add_f32_e32 v4, v79, v76
	v_add_co_ci_u32_e32 v70, vcc_lo, 0, v1, vcc_lo
	global_store_dwordx2 v[0:1], v[65:66], off
	global_store_dwordx2 v[2:3], v[63:64], off offset:352
	global_store_dwordx2 v[67:68], v[54:55], off offset:704
	;; [unrolled: 1-line block ×3, first 2 shown]
	v_mul_hi_u32 v54, 0x1b4e81b5, v7
	v_sub_f32_e32 v50, v56, v72
	v_add_co_u32 v2, vcc_lo, 0x2000, v0
	v_add_co_ci_u32_e32 v3, vcc_lo, 0, v1, vcc_lo
	v_add_co_u32 v4, vcc_lo, 0x2800, v0
	v_lshrrev_b32_e32 v56, 5, v54
	v_add_co_ci_u32_e32 v5, vcc_lo, 0, v1, vcc_lo
	v_add_co_u32 v54, vcc_lo, 0x3800, v0
	v_mul_u32_u24_e32 v65, 0x12c, v56
	v_add_co_ci_u32_e32 v55, vcc_lo, 0, v1, vcc_lo
	v_add_co_u32 v63, vcc_lo, 0x4000, v0
	v_sub_nc_u32_e32 v7, v7, v65
	v_add_co_ci_u32_e32 v64, vcc_lo, 0, v1, vcc_lo
	global_store_dwordx2 v[2:3], v[52:53], off offset:1408
	global_store_dwordx2 v[4:5], v[50:51], off offset:1760
	;; [unrolled: 1-line block ×4, first 2 shown]
	v_add_co_u32 v2, vcc_lo, 0x4800, v0
	v_mad_u32_u24 v5, 0xbb8, v56, v7
	v_add_co_ci_u32_e32 v3, vcc_lo, 0, v1, vcc_lo
	v_add_co_u32 v0, vcc_lo, 0x5000, v0
	v_lshlrev_b64 v[24:25], 3, v[5:6]
	v_add_co_ci_u32_e32 v1, vcc_lo, 0, v1, vcc_lo
	v_sub_f32_e32 v22, v79, v76
	v_add_nc_u32_e32 v48, 0x12c, v5
	v_mov_b32_e32 v49, v6
	v_add_co_u32 v24, vcc_lo, v71, v24
	v_add_co_ci_u32_e32 v25, vcc_lo, v74, v25, vcc_lo
	v_add_nc_u32_e32 v50, 0x258, v5
	v_mov_b32_e32 v51, v6
	global_store_dwordx2 v[2:3], v[22:23], off offset:768
	global_store_dwordx2 v[0:1], v[20:21], off offset:1120
	v_lshlrev_b64 v[0:1], 3, v[48:49]
	global_store_dwordx2 v[24:25], v[18:19], off
	v_add_nc_u32_e32 v18, 0x384, v5
	v_mov_b32_e32 v19, v6
	v_lshlrev_b64 v[2:3], 3, v[50:51]
	v_add_nc_u32_e32 v20, 0x4b0, v5
	v_mov_b32_e32 v21, v6
	v_add_co_u32 v0, vcc_lo, v71, v0
	v_lshlrev_b64 v[18:19], 3, v[18:19]
	v_add_nc_u32_e32 v4, 0xc8, v73
	v_add_co_ci_u32_e32 v1, vcc_lo, v74, v1, vcc_lo
	v_add_co_u32 v2, vcc_lo, v71, v2
	v_lshlrev_b64 v[20:21], 3, v[20:21]
	v_add_co_ci_u32_e32 v3, vcc_lo, v74, v3, vcc_lo
	v_add_co_u32 v18, vcc_lo, v71, v18
	v_mul_hi_u32 v7, 0x1b4e81b5, v4
	v_add_co_ci_u32_e32 v19, vcc_lo, v74, v19, vcc_lo
	v_add_co_u32 v20, vcc_lo, v71, v20
	v_add_nc_u32_e32 v22, 0x5dc, v5
	v_mov_b32_e32 v23, v6
	v_add_co_ci_u32_e32 v21, vcc_lo, v74, v21, vcc_lo
	global_store_dwordx2 v[0:1], v[16:17], off
	global_store_dwordx2 v[2:3], v[14:15], off
	;; [unrolled: 1-line block ×4, first 2 shown]
	v_add_nc_u32_e32 v2, 0x708, v5
	v_mov_b32_e32 v3, v6
	v_lshrrev_b32_e32 v7, 5, v7
	v_lshlrev_b64 v[0:1], 3, v[22:23]
	v_add_nc_u32_e32 v10, 0x834, v5
	v_mov_b32_e32 v11, v6
	v_lshlrev_b64 v[2:3], 3, v[2:3]
	v_add_nc_u32_e32 v12, 0x960, v5
	v_mov_b32_e32 v13, v6
	v_mul_u32_u24_e32 v14, 0x12c, v7
	v_add_co_u32 v0, vcc_lo, v71, v0
	v_lshlrev_b64 v[10:11], 3, v[10:11]
	v_add_co_ci_u32_e32 v1, vcc_lo, v74, v1, vcc_lo
	v_add_co_u32 v2, vcc_lo, v71, v2
	v_lshlrev_b64 v[12:13], 3, v[12:13]
	v_add_nc_u32_e32 v5, 0xa8c, v5
	v_sub_nc_u32_e32 v4, v4, v14
	v_add_co_ci_u32_e32 v3, vcc_lo, v74, v3, vcc_lo
	v_add_co_u32 v10, vcc_lo, v71, v10
	v_add_co_ci_u32_e32 v11, vcc_lo, v74, v11, vcc_lo
	v_lshlrev_b64 v[14:15], 3, v[5:6]
	v_mad_u32_u24 v5, 0xbb8, v7, v4
	v_add_co_u32 v12, vcc_lo, v71, v12
	v_add_co_ci_u32_e32 v13, vcc_lo, v74, v13, vcc_lo
	global_store_dwordx2 v[0:1], v[61:62], off
	global_store_dwordx2 v[2:3], v[59:60], off
	;; [unrolled: 1-line block ×4, first 2 shown]
	v_add_nc_u32_e32 v2, 0x12c, v5
	v_mov_b32_e32 v3, v6
	v_lshlrev_b64 v[0:1], 3, v[5:6]
	v_add_co_u32 v7, vcc_lo, v71, v14
	v_add_co_ci_u32_e32 v8, vcc_lo, v74, v15, vcc_lo
	v_lshlrev_b64 v[2:3], 3, v[2:3]
	v_add_co_u32 v0, vcc_lo, v71, v0
	v_add_co_ci_u32_e32 v1, vcc_lo, v74, v1, vcc_lo
	v_add_nc_u32_e32 v9, 0x258, v5
	v_mov_b32_e32 v10, v6
	v_add_co_u32 v2, vcc_lo, v71, v2
	v_add_co_ci_u32_e32 v3, vcc_lo, v74, v3, vcc_lo
	v_add_nc_u32_e32 v11, 0x384, v5
	v_mov_b32_e32 v12, v6
	global_store_dwordx2 v[7:8], v[46:47], off
	global_store_dwordx2 v[0:1], v[36:37], off
	v_lshlrev_b64 v[0:1], 3, v[9:10]
	v_add_nc_u32_e32 v7, 0x4b0, v5
	v_mov_b32_e32 v8, v6
	global_store_dwordx2 v[2:3], v[44:45], off
	v_lshlrev_b64 v[2:3], 3, v[11:12]
	v_add_nc_u32_e32 v9, 0x5dc, v5
	v_add_co_u32 v0, vcc_lo, v71, v0
	v_lshlrev_b64 v[7:8], 3, v[7:8]
	v_add_co_ci_u32_e32 v1, vcc_lo, v74, v1, vcc_lo
	v_add_co_u32 v2, vcc_lo, v71, v2
	v_add_co_ci_u32_e32 v3, vcc_lo, v74, v3, vcc_lo
	v_add_co_u32 v7, vcc_lo, v71, v7
	v_sub_f32_e32 v30, v99, v40
	v_add_f32_e32 v40, v99, v40
	v_add_co_ci_u32_e32 v8, vcc_lo, v74, v8, vcc_lo
	v_add_nc_u32_e32 v11, 0x708, v5
	global_store_dwordx2 v[0:1], v[42:43], off
	global_store_dwordx2 v[2:3], v[40:41], off
	v_lshlrev_b64 v[0:1], 3, v[9:10]
	global_store_dwordx2 v[7:8], v[38:39], off
	v_add_nc_u32_e32 v7, 0x834, v5
	v_mov_b32_e32 v8, v6
	v_lshlrev_b64 v[2:3], 3, v[11:12]
	v_add_nc_u32_e32 v9, 0x960, v5
	v_add_co_u32 v0, vcc_lo, v71, v0
	v_lshlrev_b64 v[7:8], 3, v[7:8]
	v_add_nc_u32_e32 v5, 0xa8c, v5
	v_add_co_ci_u32_e32 v1, vcc_lo, v74, v1, vcc_lo
	v_add_co_u32 v2, vcc_lo, v71, v2
	v_lshlrev_b64 v[9:10], 3, v[9:10]
	v_add_co_ci_u32_e32 v3, vcc_lo, v74, v3, vcc_lo
	v_add_co_u32 v7, vcc_lo, v71, v7
	v_lshlrev_b64 v[4:5], 3, v[5:6]
	v_add_co_ci_u32_e32 v8, vcc_lo, v74, v8, vcc_lo
	v_add_co_u32 v9, vcc_lo, v71, v9
	v_add_co_ci_u32_e32 v10, vcc_lo, v74, v10, vcc_lo
	v_add_co_u32 v4, vcc_lo, v71, v4
	v_add_co_ci_u32_e32 v5, vcc_lo, v74, v5, vcc_lo
	global_store_dwordx2 v[0:1], v[26:27], off
	global_store_dwordx2 v[2:3], v[34:35], off
	;; [unrolled: 1-line block ×5, first 2 shown]
.LBB0_15:
	s_endpgm
	.section	.rodata,"a",@progbits
	.p2align	6, 0x0
	.amdhsa_kernel fft_rtc_fwd_len3000_factors_10_3_10_10_wgs_100_tpt_100_halfLds_sp_op_CI_CI_unitstride_sbrr_dirReg
		.amdhsa_group_segment_fixed_size 0
		.amdhsa_private_segment_fixed_size 0
		.amdhsa_kernarg_size 104
		.amdhsa_user_sgpr_count 6
		.amdhsa_user_sgpr_private_segment_buffer 1
		.amdhsa_user_sgpr_dispatch_ptr 0
		.amdhsa_user_sgpr_queue_ptr 0
		.amdhsa_user_sgpr_kernarg_segment_ptr 1
		.amdhsa_user_sgpr_dispatch_id 0
		.amdhsa_user_sgpr_flat_scratch_init 0
		.amdhsa_user_sgpr_private_segment_size 0
		.amdhsa_wavefront_size32 1
		.amdhsa_uses_dynamic_stack 0
		.amdhsa_system_sgpr_private_segment_wavefront_offset 0
		.amdhsa_system_sgpr_workgroup_id_x 1
		.amdhsa_system_sgpr_workgroup_id_y 0
		.amdhsa_system_sgpr_workgroup_id_z 0
		.amdhsa_system_sgpr_workgroup_info 0
		.amdhsa_system_vgpr_workitem_id 0
		.amdhsa_next_free_vgpr 149
		.amdhsa_next_free_sgpr 27
		.amdhsa_reserve_vcc 1
		.amdhsa_reserve_flat_scratch 0
		.amdhsa_float_round_mode_32 0
		.amdhsa_float_round_mode_16_64 0
		.amdhsa_float_denorm_mode_32 3
		.amdhsa_float_denorm_mode_16_64 3
		.amdhsa_dx10_clamp 1
		.amdhsa_ieee_mode 1
		.amdhsa_fp16_overflow 0
		.amdhsa_workgroup_processor_mode 1
		.amdhsa_memory_ordered 1
		.amdhsa_forward_progress 0
		.amdhsa_shared_vgpr_count 0
		.amdhsa_exception_fp_ieee_invalid_op 0
		.amdhsa_exception_fp_denorm_src 0
		.amdhsa_exception_fp_ieee_div_zero 0
		.amdhsa_exception_fp_ieee_overflow 0
		.amdhsa_exception_fp_ieee_underflow 0
		.amdhsa_exception_fp_ieee_inexact 0
		.amdhsa_exception_int_div_zero 0
	.end_amdhsa_kernel
	.text
.Lfunc_end0:
	.size	fft_rtc_fwd_len3000_factors_10_3_10_10_wgs_100_tpt_100_halfLds_sp_op_CI_CI_unitstride_sbrr_dirReg, .Lfunc_end0-fft_rtc_fwd_len3000_factors_10_3_10_10_wgs_100_tpt_100_halfLds_sp_op_CI_CI_unitstride_sbrr_dirReg
                                        ; -- End function
	.section	.AMDGPU.csdata,"",@progbits
; Kernel info:
; codeLenInByte = 16760
; NumSgprs: 29
; NumVgprs: 149
; ScratchSize: 0
; MemoryBound: 0
; FloatMode: 240
; IeeeMode: 1
; LDSByteSize: 0 bytes/workgroup (compile time only)
; SGPRBlocks: 3
; VGPRBlocks: 18
; NumSGPRsForWavesPerEU: 29
; NumVGPRsForWavesPerEU: 149
; Occupancy: 6
; WaveLimiterHint : 1
; COMPUTE_PGM_RSRC2:SCRATCH_EN: 0
; COMPUTE_PGM_RSRC2:USER_SGPR: 6
; COMPUTE_PGM_RSRC2:TRAP_HANDLER: 0
; COMPUTE_PGM_RSRC2:TGID_X_EN: 1
; COMPUTE_PGM_RSRC2:TGID_Y_EN: 0
; COMPUTE_PGM_RSRC2:TGID_Z_EN: 0
; COMPUTE_PGM_RSRC2:TIDIG_COMP_CNT: 0
	.text
	.p2alignl 6, 3214868480
	.fill 48, 4, 3214868480
	.type	__hip_cuid_a727c14a1078e7c4,@object ; @__hip_cuid_a727c14a1078e7c4
	.section	.bss,"aw",@nobits
	.globl	__hip_cuid_a727c14a1078e7c4
__hip_cuid_a727c14a1078e7c4:
	.byte	0                               ; 0x0
	.size	__hip_cuid_a727c14a1078e7c4, 1

	.ident	"AMD clang version 19.0.0git (https://github.com/RadeonOpenCompute/llvm-project roc-6.4.0 25133 c7fe45cf4b819c5991fe208aaa96edf142730f1d)"
	.section	".note.GNU-stack","",@progbits
	.addrsig
	.addrsig_sym __hip_cuid_a727c14a1078e7c4
	.amdgpu_metadata
---
amdhsa.kernels:
  - .args:
      - .actual_access:  read_only
        .address_space:  global
        .offset:         0
        .size:           8
        .value_kind:     global_buffer
      - .offset:         8
        .size:           8
        .value_kind:     by_value
      - .actual_access:  read_only
        .address_space:  global
        .offset:         16
        .size:           8
        .value_kind:     global_buffer
      - .actual_access:  read_only
        .address_space:  global
        .offset:         24
        .size:           8
        .value_kind:     global_buffer
      - .actual_access:  read_only
        .address_space:  global
        .offset:         32
        .size:           8
        .value_kind:     global_buffer
      - .offset:         40
        .size:           8
        .value_kind:     by_value
      - .actual_access:  read_only
        .address_space:  global
        .offset:         48
        .size:           8
        .value_kind:     global_buffer
      - .actual_access:  read_only
        .address_space:  global
        .offset:         56
        .size:           8
        .value_kind:     global_buffer
      - .offset:         64
        .size:           4
        .value_kind:     by_value
      - .actual_access:  read_only
        .address_space:  global
        .offset:         72
        .size:           8
        .value_kind:     global_buffer
      - .actual_access:  read_only
        .address_space:  global
        .offset:         80
        .size:           8
        .value_kind:     global_buffer
      - .actual_access:  read_only
        .address_space:  global
        .offset:         88
        .size:           8
        .value_kind:     global_buffer
      - .actual_access:  write_only
        .address_space:  global
        .offset:         96
        .size:           8
        .value_kind:     global_buffer
    .group_segment_fixed_size: 0
    .kernarg_segment_align: 8
    .kernarg_segment_size: 104
    .language:       OpenCL C
    .language_version:
      - 2
      - 0
    .max_flat_workgroup_size: 100
    .name:           fft_rtc_fwd_len3000_factors_10_3_10_10_wgs_100_tpt_100_halfLds_sp_op_CI_CI_unitstride_sbrr_dirReg
    .private_segment_fixed_size: 0
    .sgpr_count:     29
    .sgpr_spill_count: 0
    .symbol:         fft_rtc_fwd_len3000_factors_10_3_10_10_wgs_100_tpt_100_halfLds_sp_op_CI_CI_unitstride_sbrr_dirReg.kd
    .uniform_work_group_size: 1
    .uses_dynamic_stack: false
    .vgpr_count:     149
    .vgpr_spill_count: 0
    .wavefront_size: 32
    .workgroup_processor_mode: 1
amdhsa.target:   amdgcn-amd-amdhsa--gfx1030
amdhsa.version:
  - 1
  - 2
...

	.end_amdgpu_metadata
